;; amdgpu-corpus repo=ROCm/AMDMIGraphX kind=compiled arch=gfx950 opt=O3
	.text
	.amdgcn_target "amdgcn-amd-amdhsa--gfx950"
	.amdhsa_code_object_version 6
	.p2align	2                               ; -- Begin function _ZNK8migraphx13basic_printerIZNS_4coutEvEUlT_E_ElsEPKc
	.type	_ZNK8migraphx13basic_printerIZNS_4coutEvEUlT_E_ElsEPKc,@function
_ZNK8migraphx13basic_printerIZNS_4coutEvEUlT_E_ElsEPKc: ; @_ZNK8migraphx13basic_printerIZNS_4coutEvEUlT_E_ElsEPKc
; %bb.0:
	s_waitcnt vmcnt(0) expcnt(0) lgkmcnt(0)
	s_load_dwordx2 s[2:3], s[8:9], 0x50
	v_mbcnt_lo_u32_b32 v2, -1, 0
	v_mbcnt_hi_u32_b32 v36, -1, v2
	v_mov_b64_e32 v[6:7], 0
	v_readfirstlane_b32 s0, v36
	s_nop 1
	v_cmp_eq_u32_e64 s[0:1], s0, v36
	s_and_saveexec_b64 s[4:5], s[0:1]
	s_cbranch_execz .LBB0_6
; %bb.1:
	v_mov_b32_e32 v2, 0
	s_waitcnt lgkmcnt(0)
	global_load_dwordx2 v[8:9], v2, s[2:3] offset:24 sc0 sc1
	s_waitcnt vmcnt(0)
	buffer_inv sc0 sc1
	global_load_dwordx2 v[4:5], v2, s[2:3] offset:40
	global_load_dwordx2 v[6:7], v2, s[2:3]
	s_waitcnt vmcnt(1)
	v_and_b32_e32 v3, v4, v8
	v_and_b32_e32 v4, v5, v9
	v_mul_lo_u32 v4, v4, 24
	v_mul_hi_u32 v5, v3, 24
	v_add_u32_e32 v5, v5, v4
	v_mul_lo_u32 v4, v3, 24
	s_waitcnt vmcnt(0)
	v_lshl_add_u64 v[4:5], v[6:7], 0, v[4:5]
	global_load_dwordx2 v[6:7], v[4:5], off sc0 sc1
	s_waitcnt vmcnt(0)
	global_atomic_cmpswap_x2 v[6:7], v2, v[6:9], s[2:3] offset:24 sc0 sc1
	s_waitcnt vmcnt(0)
	buffer_inv sc0 sc1
	v_cmp_ne_u64_e32 vcc, v[6:7], v[8:9]
	s_and_saveexec_b64 s[6:7], vcc
	s_cbranch_execz .LBB0_5
; %bb.2:
	s_mov_b64 s[8:9], 0
.LBB0_3:                                ; =>This Inner Loop Header: Depth=1
	s_sleep 1
	global_load_dwordx2 v[4:5], v2, s[2:3] offset:40
	global_load_dwordx2 v[10:11], v2, s[2:3]
	v_mov_b64_e32 v[8:9], v[6:7]
	s_waitcnt vmcnt(1)
	v_and_b32_e32 v4, v4, v8
	v_and_b32_e32 v3, v5, v9
	s_waitcnt vmcnt(0)
	v_mad_u64_u32 v[4:5], s[10:11], v4, 24, v[10:11]
	v_mov_b32_e32 v6, v5
	v_mad_u64_u32 v[6:7], s[10:11], v3, 24, v[6:7]
	v_mov_b32_e32 v5, v6
	global_load_dwordx2 v[6:7], v[4:5], off sc0 sc1
	s_waitcnt vmcnt(0)
	global_atomic_cmpswap_x2 v[6:7], v2, v[6:9], s[2:3] offset:24 sc0 sc1
	s_waitcnt vmcnt(0)
	buffer_inv sc0 sc1
	v_cmp_eq_u64_e32 vcc, v[6:7], v[8:9]
	s_or_b64 s[8:9], vcc, s[8:9]
	s_andn2_b64 exec, exec, s[8:9]
	s_cbranch_execnz .LBB0_3
; %bb.4:
	s_or_b64 exec, exec, s[8:9]
.LBB0_5:
	s_or_b64 exec, exec, s[6:7]
.LBB0_6:
	s_or_b64 exec, exec, s[4:5]
	v_mov_b32_e32 v29, 0
	s_waitcnt lgkmcnt(0)
	global_load_dwordx2 v[8:9], v29, s[2:3] offset:40
	global_load_dwordx4 v[2:5], v29, s[2:3]
	v_readfirstlane_b32 s4, v6
	v_readfirstlane_b32 s5, v7
	s_mov_b64 s[6:7], exec
	s_waitcnt vmcnt(1)
	v_readfirstlane_b32 s8, v8
	v_readfirstlane_b32 s9, v9
	s_and_b64 s[8:9], s[4:5], s[8:9]
	s_mul_i32 s10, s9, 24
	s_mul_hi_u32 s11, s8, 24
	s_add_i32 s11, s11, s10
	s_mul_i32 s10, s8, 24
	s_waitcnt vmcnt(0)
	v_lshl_add_u64 v[6:7], v[2:3], 0, s[10:11]
	s_and_saveexec_b64 s[10:11], s[0:1]
	s_cbranch_execz .LBB0_8
; %bb.7:
	v_mov_b64_e32 v[8:9], s[6:7]
	v_mov_b32_e32 v10, 2
	v_mov_b32_e32 v11, 1
	global_store_dwordx4 v[6:7], v[8:11], off offset:8
.LBB0_8:
	s_or_b64 exec, exec, s[10:11]
	s_lshl_b64 s[6:7], s[8:9], 12
	v_lshl_add_u64 v[8:9], v[4:5], 0, s[6:7]
	s_mov_b32 s8, 0
	v_lshlrev_b32_e32 v28, 6, v36
	v_mov_b32_e32 v10, 33
	v_mov_b32_e32 v11, v29
	;; [unrolled: 1-line block ×4, first 2 shown]
	v_readfirstlane_b32 s6, v8
	v_readfirstlane_b32 s7, v9
	s_mov_b32 s10, s8
	s_mov_b32 s11, s8
	;; [unrolled: 1-line block ×3, first 2 shown]
	s_nop 1
	global_store_dwordx4 v28, v[10:13], s[6:7]
	s_nop 1
	v_mov_b64_e32 v[12:13], s[10:11]
	v_mov_b64_e32 v[10:11], s[8:9]
	global_store_dwordx4 v28, v[10:13], s[6:7] offset:16
	global_store_dwordx4 v28, v[10:13], s[6:7] offset:32
	;; [unrolled: 1-line block ×3, first 2 shown]
	s_and_saveexec_b64 s[6:7], s[0:1]
	s_cbranch_execz .LBB0_16
; %bb.9:
	v_mov_b32_e32 v12, 0
	global_load_dwordx2 v[16:17], v12, s[2:3] offset:32 sc0 sc1
	global_load_dwordx2 v[4:5], v12, s[2:3] offset:40
	v_mov_b32_e32 v14, s4
	v_mov_b32_e32 v15, s5
	s_waitcnt vmcnt(0)
	v_and_b32_e32 v4, s4, v4
	v_and_b32_e32 v5, s5, v5
	v_mul_lo_u32 v5, v5, 24
	v_mul_hi_u32 v10, v4, 24
	v_mul_lo_u32 v4, v4, 24
	v_add_u32_e32 v5, v10, v5
	v_lshl_add_u64 v[10:11], v[2:3], 0, v[4:5]
	global_store_dwordx2 v[10:11], v[16:17], off
	buffer_wbl2 sc0 sc1
	s_waitcnt vmcnt(0)
	global_atomic_cmpswap_x2 v[4:5], v12, v[14:17], s[2:3] offset:32 sc0 sc1
	s_waitcnt vmcnt(0)
	v_cmp_ne_u64_e32 vcc, v[4:5], v[16:17]
	s_and_saveexec_b64 s[8:9], vcc
	s_cbranch_execz .LBB0_12
; %bb.10:
	s_mov_b64 s[10:11], 0
.LBB0_11:                               ; =>This Inner Loop Header: Depth=1
	s_sleep 1
	global_store_dwordx2 v[10:11], v[4:5], off
	v_mov_b32_e32 v2, s4
	v_mov_b32_e32 v3, s5
	buffer_wbl2 sc0 sc1
	s_waitcnt vmcnt(0)
	global_atomic_cmpswap_x2 v[2:3], v12, v[2:5], s[2:3] offset:32 sc0 sc1
	s_waitcnt vmcnt(0)
	v_cmp_eq_u64_e32 vcc, v[2:3], v[4:5]
	s_or_b64 s[10:11], vcc, s[10:11]
	v_mov_b64_e32 v[4:5], v[2:3]
	s_andn2_b64 exec, exec, s[10:11]
	s_cbranch_execnz .LBB0_11
.LBB0_12:
	s_or_b64 exec, exec, s[8:9]
	v_mov_b32_e32 v5, 0
	global_load_dwordx2 v[2:3], v5, s[2:3] offset:16
	s_mov_b64 s[8:9], exec
	v_mbcnt_lo_u32_b32 v4, s8, 0
	v_mbcnt_hi_u32_b32 v4, s9, v4
	v_cmp_eq_u32_e32 vcc, 0, v4
	s_and_saveexec_b64 s[10:11], vcc
	s_cbranch_execz .LBB0_14
; %bb.13:
	s_bcnt1_i32_b64 s8, s[8:9]
	v_mov_b32_e32 v4, s8
	buffer_wbl2 sc0 sc1
	s_waitcnt vmcnt(0)
	global_atomic_add_x2 v[2:3], v[4:5], off offset:8 sc1
.LBB0_14:
	s_or_b64 exec, exec, s[10:11]
	s_waitcnt vmcnt(0)
	global_load_dwordx2 v[4:5], v[2:3], off offset:16
	s_waitcnt vmcnt(0)
	v_cmp_eq_u64_e32 vcc, 0, v[4:5]
	s_cbranch_vccnz .LBB0_16
; %bb.15:
	global_load_dword v2, v[2:3], off offset:24
	v_mov_b32_e32 v3, 0
	buffer_wbl2 sc0 sc1
	s_waitcnt vmcnt(0)
	global_store_dwordx2 v[4:5], v[2:3], off sc0 sc1
	v_and_b32_e32 v2, 0xffffff, v2
	s_nop 0
	v_readfirstlane_b32 m0, v2
	s_sendmsg sendmsg(MSG_INTERRUPT)
.LBB0_16:
	s_or_b64 exec, exec, s[6:7]
	v_lshl_add_u64 v[2:3], v[8:9], 0, v[28:29]
	s_branch .LBB0_20
.LBB0_17:                               ;   in Loop: Header=BB0_20 Depth=1
	s_or_b64 exec, exec, s[6:7]
	v_readfirstlane_b32 s6, v4
	s_cmp_eq_u32 s6, 0
	s_cbranch_scc1 .LBB0_19
; %bb.18:                               ;   in Loop: Header=BB0_20 Depth=1
	s_sleep 1
	s_cbranch_execnz .LBB0_20
	s_branch .LBB0_22
.LBB0_19:
	s_branch .LBB0_22
.LBB0_20:                               ; =>This Inner Loop Header: Depth=1
	v_mov_b32_e32 v4, 1
	s_and_saveexec_b64 s[6:7], s[0:1]
	s_cbranch_execz .LBB0_17
; %bb.21:                               ;   in Loop: Header=BB0_20 Depth=1
	global_load_dword v4, v[6:7], off offset:20 sc0 sc1
	s_waitcnt vmcnt(0)
	buffer_inv sc0 sc1
	v_and_b32_e32 v4, 1, v4
	s_branch .LBB0_17
.LBB0_22:
	global_load_dwordx2 v[6:7], v[2:3], off
	s_and_saveexec_b64 s[6:7], s[0:1]
	s_cbranch_execz .LBB0_25
; %bb.23:
	v_mov_b32_e32 v10, 0
	global_load_dwordx2 v[8:9], v10, s[2:3] offset:40
	global_load_dwordx2 v[12:13], v10, s[2:3] offset:24 sc0 sc1
	global_load_dwordx2 v[14:15], v10, s[2:3]
	s_mov_b64 s[0:1], 0
	s_waitcnt vmcnt(2)
	v_lshl_add_u64 v[2:3], v[8:9], 0, 1
	v_lshl_add_u64 v[16:17], v[2:3], 0, s[4:5]
	v_cmp_eq_u64_e32 vcc, 0, v[16:17]
	s_waitcnt vmcnt(1)
	v_mov_b32_e32 v4, v12
	v_cndmask_b32_e32 v3, v17, v3, vcc
	v_cndmask_b32_e32 v2, v16, v2, vcc
	v_and_b32_e32 v5, v3, v9
	v_and_b32_e32 v8, v2, v8
	v_mul_lo_u32 v5, v5, 24
	v_mul_hi_u32 v9, v8, 24
	v_mul_lo_u32 v8, v8, 24
	v_add_u32_e32 v9, v9, v5
	s_waitcnt vmcnt(0)
	v_lshl_add_u64 v[8:9], v[14:15], 0, v[8:9]
	global_store_dwordx2 v[8:9], v[12:13], off
	v_mov_b32_e32 v5, v13
	buffer_wbl2 sc0 sc1
	s_waitcnt vmcnt(0)
	global_atomic_cmpswap_x2 v[4:5], v10, v[2:5], s[2:3] offset:24 sc0 sc1
	s_waitcnt vmcnt(0)
	v_cmp_ne_u64_e32 vcc, v[4:5], v[12:13]
	s_and_b64 exec, exec, vcc
	s_cbranch_execz .LBB0_25
.LBB0_24:                               ; =>This Inner Loop Header: Depth=1
	s_sleep 1
	global_store_dwordx2 v[8:9], v[4:5], off
	buffer_wbl2 sc0 sc1
	s_waitcnt vmcnt(0)
	global_atomic_cmpswap_x2 v[12:13], v10, v[2:5], s[2:3] offset:24 sc0 sc1
	s_waitcnt vmcnt(0)
	v_cmp_eq_u64_e32 vcc, v[12:13], v[4:5]
	s_or_b64 s[0:1], vcc, s[0:1]
	v_mov_b64_e32 v[4:5], v[12:13]
	s_andn2_b64 exec, exec, s[0:1]
	s_cbranch_execnz .LBB0_24
.LBB0_25:
	s_or_b64 exec, exec, s[6:7]
	s_getpc_b64 s[4:5]
	s_add_u32 s4, s4, .str.5@rel32@lo+4
	s_addc_u32 s5, s5, .str.5@rel32@hi+12
	s_cmp_lg_u64 s[4:5], 0
	s_cbranch_scc0 .LBB0_110
; %bb.26:
	s_waitcnt vmcnt(0)
	v_and_b32_e32 v30, 2, v6
	v_mov_b32_e32 v33, 0
	v_and_b32_e32 v2, -3, v6
	v_mov_b32_e32 v3, v7
	s_mov_b64 s[6:7], 3
	v_mov_b32_e32 v10, 2
	v_mov_b32_e32 v11, 1
	s_branch .LBB0_28
.LBB0_27:                               ;   in Loop: Header=BB0_28 Depth=1
	s_or_b64 exec, exec, s[12:13]
	s_sub_u32 s6, s6, s8
	s_subb_u32 s7, s7, s9
	s_add_u32 s4, s4, s8
	s_addc_u32 s5, s5, s9
	s_cmp_lg_u64 s[6:7], 0
	s_cbranch_scc0 .LBB0_109
.LBB0_28:                               ; =>This Loop Header: Depth=1
                                        ;     Child Loop BB0_31 Depth 2
                                        ;     Child Loop BB0_38 Depth 2
	;; [unrolled: 1-line block ×11, first 2 shown]
	v_cmp_lt_u64_e64 s[0:1], s[6:7], 56
	s_and_b64 s[0:1], s[0:1], exec
	v_cmp_gt_u64_e64 s[0:1], s[6:7], 7
	s_cselect_b32 s9, s7, 0
	s_cselect_b32 s8, s6, 56
	s_and_b64 vcc, exec, s[0:1]
	s_cbranch_vccnz .LBB0_33
; %bb.29:                               ;   in Loop: Header=BB0_28 Depth=1
	s_mov_b64 s[0:1], 0
	s_cmp_eq_u64 s[6:7], 0
	s_waitcnt vmcnt(0)
	v_mov_b64_e32 v[4:5], 0
	s_cbranch_scc1 .LBB0_32
; %bb.30:                               ;   in Loop: Header=BB0_28 Depth=1
	s_lshl_b64 s[10:11], s[8:9], 3
	s_mov_b64 s[12:13], 0
	v_mov_b64_e32 v[4:5], 0
	s_mov_b64 s[14:15], s[4:5]
.LBB0_31:                               ;   Parent Loop BB0_28 Depth=1
                                        ; =>  This Inner Loop Header: Depth=2
	global_load_ubyte v8, v33, s[14:15]
	s_waitcnt vmcnt(0)
	v_and_b32_e32 v32, 0xffff, v8
	v_lshlrev_b64 v[8:9], s12, v[32:33]
	s_add_u32 s12, s12, 8
	s_addc_u32 s13, s13, 0
	s_add_u32 s14, s14, 1
	s_addc_u32 s15, s15, 0
	v_or_b32_e32 v4, v8, v4
	s_cmp_lg_u32 s10, s12
	v_or_b32_e32 v5, v9, v5
	s_cbranch_scc1 .LBB0_31
.LBB0_32:                               ;   in Loop: Header=BB0_28 Depth=1
	s_mov_b32 s14, 0
	s_andn2_b64 vcc, exec, s[0:1]
	s_mov_b64 s[0:1], s[4:5]
	s_cbranch_vccz .LBB0_34
	s_branch .LBB0_35
.LBB0_33:                               ;   in Loop: Header=BB0_28 Depth=1
                                        ; implicit-def: $vgpr4_vgpr5
                                        ; implicit-def: $sgpr14
	s_mov_b64 s[0:1], s[4:5]
.LBB0_34:                               ;   in Loop: Header=BB0_28 Depth=1
	global_load_dwordx2 v[4:5], v33, s[4:5]
	s_add_i32 s14, s8, -8
	s_add_u32 s0, s4, 8
	s_addc_u32 s1, s5, 0
.LBB0_35:                               ;   in Loop: Header=BB0_28 Depth=1
	s_cmp_gt_u32 s14, 7
	s_cbranch_scc1 .LBB0_39
; %bb.36:                               ;   in Loop: Header=BB0_28 Depth=1
	s_cmp_eq_u32 s14, 0
	s_cbranch_scc1 .LBB0_40
; %bb.37:                               ;   in Loop: Header=BB0_28 Depth=1
	s_mov_b64 s[10:11], 0
	v_mov_b64_e32 v[12:13], 0
	s_mov_b64 s[12:13], 0
.LBB0_38:                               ;   Parent Loop BB0_28 Depth=1
                                        ; =>  This Inner Loop Header: Depth=2
	s_add_u32 s16, s0, s12
	s_addc_u32 s17, s1, s13
	global_load_ubyte v8, v33, s[16:17]
	s_add_u32 s12, s12, 1
	s_addc_u32 s13, s13, 0
	s_waitcnt vmcnt(0)
	v_and_b32_e32 v32, 0xffff, v8
	v_lshlrev_b64 v[8:9], s10, v[32:33]
	s_add_u32 s10, s10, 8
	s_addc_u32 s11, s11, 0
	v_or_b32_e32 v12, v8, v12
	s_cmp_lg_u32 s14, s12
	v_or_b32_e32 v13, v9, v13
	s_cbranch_scc1 .LBB0_38
	s_branch .LBB0_41
.LBB0_39:                               ;   in Loop: Header=BB0_28 Depth=1
                                        ; implicit-def: $vgpr12_vgpr13
                                        ; implicit-def: $sgpr15
	s_branch .LBB0_42
.LBB0_40:                               ;   in Loop: Header=BB0_28 Depth=1
	v_mov_b64_e32 v[12:13], 0
.LBB0_41:                               ;   in Loop: Header=BB0_28 Depth=1
	s_mov_b32 s15, 0
	s_cbranch_execnz .LBB0_43
.LBB0_42:                               ;   in Loop: Header=BB0_28 Depth=1
	global_load_dwordx2 v[12:13], v33, s[0:1]
	s_add_i32 s15, s14, -8
	s_add_u32 s0, s0, 8
	s_addc_u32 s1, s1, 0
.LBB0_43:                               ;   in Loop: Header=BB0_28 Depth=1
	s_cmp_gt_u32 s15, 7
	s_cbranch_scc1 .LBB0_47
; %bb.44:                               ;   in Loop: Header=BB0_28 Depth=1
	s_cmp_eq_u32 s15, 0
	s_cbranch_scc1 .LBB0_48
; %bb.45:                               ;   in Loop: Header=BB0_28 Depth=1
	s_mov_b64 s[10:11], 0
	v_mov_b64_e32 v[14:15], 0
	s_mov_b64 s[12:13], 0
.LBB0_46:                               ;   Parent Loop BB0_28 Depth=1
                                        ; =>  This Inner Loop Header: Depth=2
	s_add_u32 s16, s0, s12
	s_addc_u32 s17, s1, s13
	global_load_ubyte v8, v33, s[16:17]
	s_add_u32 s12, s12, 1
	s_addc_u32 s13, s13, 0
	s_waitcnt vmcnt(0)
	v_and_b32_e32 v32, 0xffff, v8
	v_lshlrev_b64 v[8:9], s10, v[32:33]
	s_add_u32 s10, s10, 8
	s_addc_u32 s11, s11, 0
	v_or_b32_e32 v14, v8, v14
	s_cmp_lg_u32 s15, s12
	v_or_b32_e32 v15, v9, v15
	s_cbranch_scc1 .LBB0_46
	s_branch .LBB0_49
.LBB0_47:                               ;   in Loop: Header=BB0_28 Depth=1
                                        ; implicit-def: $sgpr14
	s_branch .LBB0_50
.LBB0_48:                               ;   in Loop: Header=BB0_28 Depth=1
	v_mov_b64_e32 v[14:15], 0
.LBB0_49:                               ;   in Loop: Header=BB0_28 Depth=1
	s_mov_b32 s14, 0
	s_cbranch_execnz .LBB0_51
.LBB0_50:                               ;   in Loop: Header=BB0_28 Depth=1
	global_load_dwordx2 v[14:15], v33, s[0:1]
	s_add_i32 s14, s15, -8
	s_add_u32 s0, s0, 8
	s_addc_u32 s1, s1, 0
.LBB0_51:                               ;   in Loop: Header=BB0_28 Depth=1
	s_cmp_gt_u32 s14, 7
	s_cbranch_scc1 .LBB0_55
; %bb.52:                               ;   in Loop: Header=BB0_28 Depth=1
	s_cmp_eq_u32 s14, 0
	s_cbranch_scc1 .LBB0_56
; %bb.53:                               ;   in Loop: Header=BB0_28 Depth=1
	s_mov_b64 s[10:11], 0
	v_mov_b64_e32 v[16:17], 0
	s_mov_b64 s[12:13], 0
.LBB0_54:                               ;   Parent Loop BB0_28 Depth=1
                                        ; =>  This Inner Loop Header: Depth=2
	s_add_u32 s16, s0, s12
	s_addc_u32 s17, s1, s13
	global_load_ubyte v8, v33, s[16:17]
	s_add_u32 s12, s12, 1
	s_addc_u32 s13, s13, 0
	s_waitcnt vmcnt(0)
	v_and_b32_e32 v32, 0xffff, v8
	v_lshlrev_b64 v[8:9], s10, v[32:33]
	s_add_u32 s10, s10, 8
	s_addc_u32 s11, s11, 0
	v_or_b32_e32 v16, v8, v16
	s_cmp_lg_u32 s14, s12
	v_or_b32_e32 v17, v9, v17
	s_cbranch_scc1 .LBB0_54
	s_branch .LBB0_57
.LBB0_55:                               ;   in Loop: Header=BB0_28 Depth=1
                                        ; implicit-def: $vgpr16_vgpr17
                                        ; implicit-def: $sgpr15
	s_branch .LBB0_58
.LBB0_56:                               ;   in Loop: Header=BB0_28 Depth=1
	v_mov_b64_e32 v[16:17], 0
.LBB0_57:                               ;   in Loop: Header=BB0_28 Depth=1
	s_mov_b32 s15, 0
	s_cbranch_execnz .LBB0_59
.LBB0_58:                               ;   in Loop: Header=BB0_28 Depth=1
	global_load_dwordx2 v[16:17], v33, s[0:1]
	s_add_i32 s15, s14, -8
	s_add_u32 s0, s0, 8
	s_addc_u32 s1, s1, 0
.LBB0_59:                               ;   in Loop: Header=BB0_28 Depth=1
	s_cmp_gt_u32 s15, 7
	s_cbranch_scc1 .LBB0_63
; %bb.60:                               ;   in Loop: Header=BB0_28 Depth=1
	s_cmp_eq_u32 s15, 0
	s_cbranch_scc1 .LBB0_64
; %bb.61:                               ;   in Loop: Header=BB0_28 Depth=1
	s_mov_b64 s[10:11], 0
	v_mov_b64_e32 v[18:19], 0
	s_mov_b64 s[12:13], 0
.LBB0_62:                               ;   Parent Loop BB0_28 Depth=1
                                        ; =>  This Inner Loop Header: Depth=2
	s_add_u32 s16, s0, s12
	s_addc_u32 s17, s1, s13
	global_load_ubyte v8, v33, s[16:17]
	s_add_u32 s12, s12, 1
	s_addc_u32 s13, s13, 0
	s_waitcnt vmcnt(0)
	v_and_b32_e32 v32, 0xffff, v8
	v_lshlrev_b64 v[8:9], s10, v[32:33]
	s_add_u32 s10, s10, 8
	s_addc_u32 s11, s11, 0
	v_or_b32_e32 v18, v8, v18
	s_cmp_lg_u32 s15, s12
	v_or_b32_e32 v19, v9, v19
	s_cbranch_scc1 .LBB0_62
	s_branch .LBB0_65
.LBB0_63:                               ;   in Loop: Header=BB0_28 Depth=1
                                        ; implicit-def: $sgpr14
	s_branch .LBB0_66
.LBB0_64:                               ;   in Loop: Header=BB0_28 Depth=1
	v_mov_b64_e32 v[18:19], 0
.LBB0_65:                               ;   in Loop: Header=BB0_28 Depth=1
	s_mov_b32 s14, 0
	s_cbranch_execnz .LBB0_67
.LBB0_66:                               ;   in Loop: Header=BB0_28 Depth=1
	global_load_dwordx2 v[18:19], v33, s[0:1]
	s_add_i32 s14, s15, -8
	s_add_u32 s0, s0, 8
	s_addc_u32 s1, s1, 0
.LBB0_67:                               ;   in Loop: Header=BB0_28 Depth=1
	s_cmp_gt_u32 s14, 7
	s_cbranch_scc1 .LBB0_71
; %bb.68:                               ;   in Loop: Header=BB0_28 Depth=1
	s_cmp_eq_u32 s14, 0
	s_cbranch_scc1 .LBB0_72
; %bb.69:                               ;   in Loop: Header=BB0_28 Depth=1
	s_mov_b64 s[10:11], 0
	v_mov_b64_e32 v[20:21], 0
	s_mov_b64 s[12:13], 0
.LBB0_70:                               ;   Parent Loop BB0_28 Depth=1
                                        ; =>  This Inner Loop Header: Depth=2
	s_add_u32 s16, s0, s12
	s_addc_u32 s17, s1, s13
	global_load_ubyte v8, v33, s[16:17]
	s_add_u32 s12, s12, 1
	s_addc_u32 s13, s13, 0
	s_waitcnt vmcnt(0)
	v_and_b32_e32 v32, 0xffff, v8
	v_lshlrev_b64 v[8:9], s10, v[32:33]
	s_add_u32 s10, s10, 8
	s_addc_u32 s11, s11, 0
	v_or_b32_e32 v20, v8, v20
	s_cmp_lg_u32 s14, s12
	v_or_b32_e32 v21, v9, v21
	s_cbranch_scc1 .LBB0_70
	s_branch .LBB0_73
.LBB0_71:                               ;   in Loop: Header=BB0_28 Depth=1
                                        ; implicit-def: $vgpr20_vgpr21
                                        ; implicit-def: $sgpr15
	s_branch .LBB0_74
.LBB0_72:                               ;   in Loop: Header=BB0_28 Depth=1
	v_mov_b64_e32 v[20:21], 0
.LBB0_73:                               ;   in Loop: Header=BB0_28 Depth=1
	s_mov_b32 s15, 0
	s_cbranch_execnz .LBB0_75
.LBB0_74:                               ;   in Loop: Header=BB0_28 Depth=1
	global_load_dwordx2 v[20:21], v33, s[0:1]
	s_add_i32 s15, s14, -8
	s_add_u32 s0, s0, 8
	s_addc_u32 s1, s1, 0
.LBB0_75:                               ;   in Loop: Header=BB0_28 Depth=1
	s_cmp_gt_u32 s15, 7
	s_cbranch_scc1 .LBB0_79
; %bb.76:                               ;   in Loop: Header=BB0_28 Depth=1
	s_cmp_eq_u32 s15, 0
	s_cbranch_scc1 .LBB0_80
; %bb.77:                               ;   in Loop: Header=BB0_28 Depth=1
	s_mov_b64 s[10:11], 0
	v_mov_b64_e32 v[22:23], 0
	s_mov_b64 s[12:13], s[0:1]
.LBB0_78:                               ;   Parent Loop BB0_28 Depth=1
                                        ; =>  This Inner Loop Header: Depth=2
	global_load_ubyte v8, v33, s[12:13]
	s_add_i32 s15, s15, -1
	s_waitcnt vmcnt(0)
	v_and_b32_e32 v32, 0xffff, v8
	v_lshlrev_b64 v[8:9], s10, v[32:33]
	s_add_u32 s10, s10, 8
	s_addc_u32 s11, s11, 0
	s_add_u32 s12, s12, 1
	s_addc_u32 s13, s13, 0
	v_or_b32_e32 v22, v8, v22
	s_cmp_lg_u32 s15, 0
	v_or_b32_e32 v23, v9, v23
	s_cbranch_scc1 .LBB0_78
	s_branch .LBB0_81
.LBB0_79:                               ;   in Loop: Header=BB0_28 Depth=1
	s_branch .LBB0_82
.LBB0_80:                               ;   in Loop: Header=BB0_28 Depth=1
	v_mov_b64_e32 v[22:23], 0
.LBB0_81:                               ;   in Loop: Header=BB0_28 Depth=1
	s_cbranch_execnz .LBB0_83
.LBB0_82:                               ;   in Loop: Header=BB0_28 Depth=1
	global_load_dwordx2 v[22:23], v33, s[0:1]
.LBB0_83:                               ;   in Loop: Header=BB0_28 Depth=1
	v_readfirstlane_b32 s0, v36
	v_mov_b64_e32 v[8:9], 0
	s_nop 0
	v_cmp_eq_u32_e64 s[0:1], s0, v36
	s_and_saveexec_b64 s[10:11], s[0:1]
	s_cbranch_execz .LBB0_89
; %bb.84:                               ;   in Loop: Header=BB0_28 Depth=1
	global_load_dwordx2 v[26:27], v33, s[2:3] offset:24 sc0 sc1
	s_waitcnt vmcnt(0)
	buffer_inv sc0 sc1
	global_load_dwordx2 v[8:9], v33, s[2:3] offset:40
	global_load_dwordx2 v[24:25], v33, s[2:3]
	s_waitcnt vmcnt(1)
	v_and_b32_e32 v8, v8, v26
	v_and_b32_e32 v9, v9, v27
	v_mul_lo_u32 v9, v9, 24
	v_mul_hi_u32 v29, v8, 24
	v_add_u32_e32 v9, v29, v9
	v_mul_lo_u32 v8, v8, 24
	s_waitcnt vmcnt(0)
	v_lshl_add_u64 v[8:9], v[24:25], 0, v[8:9]
	global_load_dwordx2 v[24:25], v[8:9], off sc0 sc1
	s_waitcnt vmcnt(0)
	global_atomic_cmpswap_x2 v[8:9], v33, v[24:27], s[2:3] offset:24 sc0 sc1
	s_waitcnt vmcnt(0)
	buffer_inv sc0 sc1
	v_cmp_ne_u64_e32 vcc, v[8:9], v[26:27]
	s_and_saveexec_b64 s[12:13], vcc
	s_cbranch_execz .LBB0_88
; %bb.85:                               ;   in Loop: Header=BB0_28 Depth=1
	s_mov_b64 s[14:15], 0
.LBB0_86:                               ;   Parent Loop BB0_28 Depth=1
                                        ; =>  This Inner Loop Header: Depth=2
	s_sleep 1
	global_load_dwordx2 v[24:25], v33, s[2:3] offset:40
	global_load_dwordx2 v[34:35], v33, s[2:3]
	v_mov_b64_e32 v[26:27], v[8:9]
	s_waitcnt vmcnt(1)
	v_and_b32_e32 v8, v24, v26
	s_waitcnt vmcnt(0)
	v_mad_u64_u32 v[8:9], s[16:17], v8, 24, v[34:35]
	v_and_b32_e32 v25, v25, v27
	v_mov_b32_e32 v24, v9
	v_mad_u64_u32 v[24:25], s[16:17], v25, 24, v[24:25]
	v_mov_b32_e32 v9, v24
	global_load_dwordx2 v[24:25], v[8:9], off sc0 sc1
	s_waitcnt vmcnt(0)
	global_atomic_cmpswap_x2 v[8:9], v33, v[24:27], s[2:3] offset:24 sc0 sc1
	s_waitcnt vmcnt(0)
	buffer_inv sc0 sc1
	v_cmp_eq_u64_e32 vcc, v[8:9], v[26:27]
	s_or_b64 s[14:15], vcc, s[14:15]
	s_andn2_b64 exec, exec, s[14:15]
	s_cbranch_execnz .LBB0_86
; %bb.87:                               ;   in Loop: Header=BB0_28 Depth=1
	s_or_b64 exec, exec, s[14:15]
.LBB0_88:                               ;   in Loop: Header=BB0_28 Depth=1
	s_or_b64 exec, exec, s[12:13]
.LBB0_89:                               ;   in Loop: Header=BB0_28 Depth=1
	s_or_b64 exec, exec, s[10:11]
	global_load_dwordx2 v[34:35], v33, s[2:3] offset:40
	global_load_dwordx4 v[24:27], v33, s[2:3]
	v_readfirstlane_b32 s10, v8
	v_readfirstlane_b32 s11, v9
	s_mov_b64 s[12:13], exec
	s_waitcnt vmcnt(1)
	v_readfirstlane_b32 s14, v34
	v_readfirstlane_b32 s15, v35
	s_and_b64 s[14:15], s[10:11], s[14:15]
	s_mul_i32 s16, s15, 24
	s_mul_hi_u32 s17, s14, 24
	s_add_i32 s17, s17, s16
	s_mul_i32 s16, s14, 24
	s_waitcnt vmcnt(0)
	v_lshl_add_u64 v[34:35], v[24:25], 0, s[16:17]
	s_and_saveexec_b64 s[16:17], s[0:1]
	s_cbranch_execz .LBB0_91
; %bb.90:                               ;   in Loop: Header=BB0_28 Depth=1
	v_mov_b64_e32 v[8:9], s[12:13]
	global_store_dwordx4 v[34:35], v[8:11], off offset:8
.LBB0_91:                               ;   in Loop: Header=BB0_28 Depth=1
	s_or_b64 exec, exec, s[16:17]
	s_lshl_b64 s[12:13], s[14:15], 12
	v_lshl_add_u64 v[8:9], v[26:27], 0, s[12:13]
	v_or_b32_e32 v27, v2, v30
	v_cmp_gt_u64_e64 vcc, s[6:7], 56
	s_lshl_b32 s12, s8, 2
	s_add_i32 s12, s12, 28
	v_cndmask_b32_e32 v2, v27, v2, vcc
	v_or_b32_e32 v26, 0, v3
	s_and_b32 s12, s12, 0x1e0
	v_and_b32_e32 v2, 0xffffff1f, v2
	v_cndmask_b32_e32 v3, v26, v3, vcc
	v_or_b32_e32 v2, s12, v2
	v_readfirstlane_b32 s12, v8
	v_readfirstlane_b32 s13, v9
	s_nop 4
	global_store_dwordx4 v28, v[2:5], s[12:13]
	global_store_dwordx4 v28, v[12:15], s[12:13] offset:16
	global_store_dwordx4 v28, v[16:19], s[12:13] offset:32
	;; [unrolled: 1-line block ×3, first 2 shown]
	s_and_saveexec_b64 s[12:13], s[0:1]
	s_cbranch_execz .LBB0_99
; %bb.92:                               ;   in Loop: Header=BB0_28 Depth=1
	global_load_dwordx2 v[16:17], v33, s[2:3] offset:32 sc0 sc1
	global_load_dwordx2 v[2:3], v33, s[2:3] offset:40
	v_mov_b32_e32 v14, s10
	v_mov_b32_e32 v15, s11
	s_waitcnt vmcnt(0)
	v_readfirstlane_b32 s14, v2
	v_readfirstlane_b32 s15, v3
	s_and_b64 s[14:15], s[14:15], s[10:11]
	s_mul_i32 s15, s15, 24
	s_mul_hi_u32 s16, s14, 24
	s_mul_i32 s14, s14, 24
	s_add_i32 s15, s16, s15
	v_lshl_add_u64 v[12:13], v[24:25], 0, s[14:15]
	global_store_dwordx2 v[12:13], v[16:17], off
	buffer_wbl2 sc0 sc1
	s_waitcnt vmcnt(0)
	global_atomic_cmpswap_x2 v[4:5], v33, v[14:17], s[2:3] offset:32 sc0 sc1
	s_waitcnt vmcnt(0)
	v_cmp_ne_u64_e32 vcc, v[4:5], v[16:17]
	s_and_saveexec_b64 s[14:15], vcc
	s_cbranch_execz .LBB0_95
; %bb.93:                               ;   in Loop: Header=BB0_28 Depth=1
	s_mov_b64 s[16:17], 0
.LBB0_94:                               ;   Parent Loop BB0_28 Depth=1
                                        ; =>  This Inner Loop Header: Depth=2
	s_sleep 1
	global_store_dwordx2 v[12:13], v[4:5], off
	v_mov_b32_e32 v2, s10
	v_mov_b32_e32 v3, s11
	buffer_wbl2 sc0 sc1
	s_waitcnt vmcnt(0)
	global_atomic_cmpswap_x2 v[2:3], v33, v[2:5], s[2:3] offset:32 sc0 sc1
	s_waitcnt vmcnt(0)
	v_cmp_eq_u64_e32 vcc, v[2:3], v[4:5]
	s_or_b64 s[16:17], vcc, s[16:17]
	v_mov_b64_e32 v[4:5], v[2:3]
	s_andn2_b64 exec, exec, s[16:17]
	s_cbranch_execnz .LBB0_94
.LBB0_95:                               ;   in Loop: Header=BB0_28 Depth=1
	s_or_b64 exec, exec, s[14:15]
	global_load_dwordx2 v[2:3], v33, s[2:3] offset:16
	s_mov_b64 s[16:17], exec
	v_mbcnt_lo_u32_b32 v4, s16, 0
	v_mbcnt_hi_u32_b32 v4, s17, v4
	v_cmp_eq_u32_e32 vcc, 0, v4
	s_and_saveexec_b64 s[14:15], vcc
	s_cbranch_execz .LBB0_97
; %bb.96:                               ;   in Loop: Header=BB0_28 Depth=1
	s_bcnt1_i32_b64 s16, s[16:17]
	v_mov_b32_e32 v32, s16
	buffer_wbl2 sc0 sc1
	s_waitcnt vmcnt(0)
	global_atomic_add_x2 v[2:3], v[32:33], off offset:8 sc1
.LBB0_97:                               ;   in Loop: Header=BB0_28 Depth=1
	s_or_b64 exec, exec, s[14:15]
	s_waitcnt vmcnt(0)
	global_load_dwordx2 v[4:5], v[2:3], off offset:16
	s_waitcnt vmcnt(0)
	v_cmp_eq_u64_e32 vcc, 0, v[4:5]
	s_cbranch_vccnz .LBB0_99
; %bb.98:                               ;   in Loop: Header=BB0_28 Depth=1
	global_load_dword v32, v[2:3], off offset:24
	s_waitcnt vmcnt(0)
	v_and_b32_e32 v2, 0xffffff, v32
	s_nop 0
	v_readfirstlane_b32 m0, v2
	buffer_wbl2 sc0 sc1
	global_store_dwordx2 v[4:5], v[32:33], off sc0 sc1
	s_sendmsg sendmsg(MSG_INTERRUPT)
.LBB0_99:                               ;   in Loop: Header=BB0_28 Depth=1
	s_or_b64 exec, exec, s[12:13]
	v_mov_b32_e32 v29, v33
	v_lshl_add_u64 v[2:3], v[8:9], 0, v[28:29]
	s_branch .LBB0_103
.LBB0_100:                              ;   in Loop: Header=BB0_103 Depth=2
	s_or_b64 exec, exec, s[12:13]
	v_readfirstlane_b32 s12, v4
	s_cmp_eq_u32 s12, 0
	s_cbranch_scc1 .LBB0_102
; %bb.101:                              ;   in Loop: Header=BB0_103 Depth=2
	s_sleep 1
	s_cbranch_execnz .LBB0_103
	s_branch .LBB0_105
.LBB0_102:                              ;   in Loop: Header=BB0_28 Depth=1
	s_branch .LBB0_105
.LBB0_103:                              ;   Parent Loop BB0_28 Depth=1
                                        ; =>  This Inner Loop Header: Depth=2
	v_mov_b32_e32 v4, 1
	s_and_saveexec_b64 s[12:13], s[0:1]
	s_cbranch_execz .LBB0_100
; %bb.104:                              ;   in Loop: Header=BB0_103 Depth=2
	global_load_dword v4, v[34:35], off offset:20 sc0 sc1
	s_waitcnt vmcnt(0)
	buffer_inv sc0 sc1
	v_and_b32_e32 v4, 1, v4
	s_branch .LBB0_100
.LBB0_105:                              ;   in Loop: Header=BB0_28 Depth=1
	global_load_dwordx4 v[2:5], v[2:3], off
	s_and_saveexec_b64 s[12:13], s[0:1]
	s_cbranch_execz .LBB0_27
; %bb.106:                              ;   in Loop: Header=BB0_28 Depth=1
	global_load_dwordx2 v[4:5], v33, s[2:3] offset:40
	global_load_dwordx2 v[8:9], v33, s[2:3] offset:24 sc0 sc1
	global_load_dwordx2 v[16:17], v33, s[2:3]
	s_waitcnt vmcnt(2)
	v_lshl_add_u64 v[12:13], v[4:5], 0, 1
	v_lshl_add_u64 v[18:19], v[12:13], 0, s[10:11]
	v_cmp_eq_u64_e32 vcc, 0, v[18:19]
	s_waitcnt vmcnt(1)
	v_mov_b32_e32 v14, v8
	v_cndmask_b32_e32 v13, v19, v13, vcc
	v_cndmask_b32_e32 v12, v18, v12, vcc
	v_and_b32_e32 v5, v13, v5
	v_and_b32_e32 v4, v12, v4
	v_mul_lo_u32 v5, v5, 24
	v_mul_hi_u32 v15, v4, 24
	v_mul_lo_u32 v4, v4, 24
	v_add_u32_e32 v5, v15, v5
	s_waitcnt vmcnt(0)
	v_lshl_add_u64 v[4:5], v[16:17], 0, v[4:5]
	global_store_dwordx2 v[4:5], v[8:9], off
	v_mov_b32_e32 v15, v9
	buffer_wbl2 sc0 sc1
	s_waitcnt vmcnt(0)
	global_atomic_cmpswap_x2 v[14:15], v33, v[12:15], s[2:3] offset:24 sc0 sc1
	s_waitcnt vmcnt(0)
	v_cmp_ne_u64_e32 vcc, v[14:15], v[8:9]
	s_and_b64 exec, exec, vcc
	s_cbranch_execz .LBB0_27
; %bb.107:                              ;   in Loop: Header=BB0_28 Depth=1
	s_mov_b64 s[0:1], 0
.LBB0_108:                              ;   Parent Loop BB0_28 Depth=1
                                        ; =>  This Inner Loop Header: Depth=2
	s_sleep 1
	global_store_dwordx2 v[4:5], v[14:15], off
	buffer_wbl2 sc0 sc1
	s_waitcnt vmcnt(0)
	global_atomic_cmpswap_x2 v[8:9], v33, v[12:15], s[2:3] offset:24 sc0 sc1
	s_waitcnt vmcnt(0)
	v_cmp_eq_u64_e32 vcc, v[8:9], v[14:15]
	s_or_b64 s[0:1], vcc, s[0:1]
	v_mov_b64_e32 v[14:15], v[8:9]
	s_andn2_b64 exec, exec, s[0:1]
	s_cbranch_execnz .LBB0_108
	s_branch .LBB0_27
.LBB0_109:
	s_branch .LBB0_137
.LBB0_110:
                                        ; implicit-def: $vgpr2_vgpr3
	s_cbranch_execz .LBB0_137
; %bb.111:
	v_readfirstlane_b32 s0, v36
	v_mov_b64_e32 v[8:9], 0
	s_nop 0
	v_cmp_eq_u32_e64 s[0:1], s0, v36
	s_and_saveexec_b64 s[4:5], s[0:1]
	s_cbranch_execz .LBB0_117
; %bb.112:
	s_waitcnt vmcnt(0)
	v_mov_b32_e32 v2, 0
	global_load_dwordx2 v[10:11], v2, s[2:3] offset:24 sc0 sc1
	s_waitcnt vmcnt(0)
	buffer_inv sc0 sc1
	global_load_dwordx2 v[4:5], v2, s[2:3] offset:40
	global_load_dwordx2 v[8:9], v2, s[2:3]
	s_waitcnt vmcnt(1)
	v_and_b32_e32 v3, v4, v10
	v_and_b32_e32 v4, v5, v11
	v_mul_lo_u32 v4, v4, 24
	v_mul_hi_u32 v5, v3, 24
	v_add_u32_e32 v5, v5, v4
	v_mul_lo_u32 v4, v3, 24
	s_waitcnt vmcnt(0)
	v_lshl_add_u64 v[4:5], v[8:9], 0, v[4:5]
	global_load_dwordx2 v[8:9], v[4:5], off sc0 sc1
	s_waitcnt vmcnt(0)
	global_atomic_cmpswap_x2 v[8:9], v2, v[8:11], s[2:3] offset:24 sc0 sc1
	s_waitcnt vmcnt(0)
	buffer_inv sc0 sc1
	v_cmp_ne_u64_e32 vcc, v[8:9], v[10:11]
	s_and_saveexec_b64 s[6:7], vcc
	s_cbranch_execz .LBB0_116
; %bb.113:
	s_mov_b64 s[8:9], 0
.LBB0_114:                              ; =>This Inner Loop Header: Depth=1
	s_sleep 1
	global_load_dwordx2 v[4:5], v2, s[2:3] offset:40
	global_load_dwordx2 v[12:13], v2, s[2:3]
	v_mov_b64_e32 v[10:11], v[8:9]
	s_waitcnt vmcnt(1)
	v_and_b32_e32 v4, v4, v10
	v_and_b32_e32 v3, v5, v11
	s_waitcnt vmcnt(0)
	v_mad_u64_u32 v[4:5], s[10:11], v4, 24, v[12:13]
	v_mov_b32_e32 v8, v5
	v_mad_u64_u32 v[8:9], s[10:11], v3, 24, v[8:9]
	v_mov_b32_e32 v5, v8
	global_load_dwordx2 v[8:9], v[4:5], off sc0 sc1
	s_waitcnt vmcnt(0)
	global_atomic_cmpswap_x2 v[8:9], v2, v[8:11], s[2:3] offset:24 sc0 sc1
	s_waitcnt vmcnt(0)
	buffer_inv sc0 sc1
	v_cmp_eq_u64_e32 vcc, v[8:9], v[10:11]
	s_or_b64 s[8:9], vcc, s[8:9]
	s_andn2_b64 exec, exec, s[8:9]
	s_cbranch_execnz .LBB0_114
; %bb.115:
	s_or_b64 exec, exec, s[8:9]
.LBB0_116:
	s_or_b64 exec, exec, s[6:7]
.LBB0_117:
	s_or_b64 exec, exec, s[4:5]
	v_mov_b32_e32 v29, 0
	global_load_dwordx2 v[10:11], v29, s[2:3] offset:40
	global_load_dwordx4 v[2:5], v29, s[2:3]
	v_readfirstlane_b32 s4, v8
	v_readfirstlane_b32 s5, v9
	s_mov_b64 s[6:7], exec
	s_waitcnt vmcnt(1)
	v_readfirstlane_b32 s8, v10
	v_readfirstlane_b32 s9, v11
	s_and_b64 s[8:9], s[4:5], s[8:9]
	s_mul_i32 s10, s9, 24
	s_mul_hi_u32 s11, s8, 24
	s_add_i32 s11, s11, s10
	s_mul_i32 s10, s8, 24
	s_waitcnt vmcnt(0)
	v_lshl_add_u64 v[10:11], v[2:3], 0, s[10:11]
	s_and_saveexec_b64 s[10:11], s[0:1]
	s_cbranch_execz .LBB0_119
; %bb.118:
	v_mov_b64_e32 v[12:13], s[6:7]
	v_mov_b32_e32 v14, 2
	v_mov_b32_e32 v15, 1
	global_store_dwordx4 v[10:11], v[12:15], off offset:8
.LBB0_119:
	s_or_b64 exec, exec, s[10:11]
	s_lshl_b64 s[6:7], s[8:9], 12
	v_lshl_add_u64 v[12:13], v[4:5], 0, s[6:7]
	s_movk_i32 s6, 0xff1f
	s_mov_b32 s8, 0
	v_and_or_b32 v6, v6, s6, 32
	v_mov_b32_e32 v8, v29
	v_mov_b32_e32 v9, v29
	v_readfirstlane_b32 s6, v12
	v_readfirstlane_b32 s7, v13
	s_mov_b32 s9, s8
	s_mov_b32 s10, s8
	;; [unrolled: 1-line block ×3, first 2 shown]
	s_nop 1
	global_store_dwordx4 v28, v[6:9], s[6:7]
	v_mov_b64_e32 v[4:5], s[8:9]
	s_nop 0
	v_mov_b64_e32 v[6:7], s[10:11]
	global_store_dwordx4 v28, v[4:7], s[6:7] offset:16
	global_store_dwordx4 v28, v[4:7], s[6:7] offset:32
	global_store_dwordx4 v28, v[4:7], s[6:7] offset:48
	s_and_saveexec_b64 s[6:7], s[0:1]
	s_cbranch_execz .LBB0_127
; %bb.120:
	v_mov_b32_e32 v8, 0
	global_load_dwordx2 v[16:17], v8, s[2:3] offset:32 sc0 sc1
	global_load_dwordx2 v[4:5], v8, s[2:3] offset:40
	v_mov_b32_e32 v14, s4
	v_mov_b32_e32 v15, s5
	s_waitcnt vmcnt(0)
	v_readfirstlane_b32 s8, v4
	v_readfirstlane_b32 s9, v5
	s_and_b64 s[8:9], s[8:9], s[4:5]
	s_mul_i32 s9, s9, 24
	s_mul_hi_u32 s10, s8, 24
	s_mul_i32 s8, s8, 24
	s_add_i32 s9, s10, s9
	v_lshl_add_u64 v[6:7], v[2:3], 0, s[8:9]
	global_store_dwordx2 v[6:7], v[16:17], off
	buffer_wbl2 sc0 sc1
	s_waitcnt vmcnt(0)
	global_atomic_cmpswap_x2 v[4:5], v8, v[14:17], s[2:3] offset:32 sc0 sc1
	s_waitcnt vmcnt(0)
	v_cmp_ne_u64_e32 vcc, v[4:5], v[16:17]
	s_and_saveexec_b64 s[8:9], vcc
	s_cbranch_execz .LBB0_123
; %bb.121:
	s_mov_b64 s[10:11], 0
.LBB0_122:                              ; =>This Inner Loop Header: Depth=1
	s_sleep 1
	global_store_dwordx2 v[6:7], v[4:5], off
	v_mov_b32_e32 v2, s4
	v_mov_b32_e32 v3, s5
	buffer_wbl2 sc0 sc1
	s_waitcnt vmcnt(0)
	global_atomic_cmpswap_x2 v[2:3], v8, v[2:5], s[2:3] offset:32 sc0 sc1
	s_waitcnt vmcnt(0)
	v_cmp_eq_u64_e32 vcc, v[2:3], v[4:5]
	s_or_b64 s[10:11], vcc, s[10:11]
	v_mov_b64_e32 v[4:5], v[2:3]
	s_andn2_b64 exec, exec, s[10:11]
	s_cbranch_execnz .LBB0_122
.LBB0_123:
	s_or_b64 exec, exec, s[8:9]
	v_mov_b32_e32 v5, 0
	global_load_dwordx2 v[2:3], v5, s[2:3] offset:16
	s_mov_b64 s[8:9], exec
	v_mbcnt_lo_u32_b32 v4, s8, 0
	v_mbcnt_hi_u32_b32 v4, s9, v4
	v_cmp_eq_u32_e32 vcc, 0, v4
	s_and_saveexec_b64 s[10:11], vcc
	s_cbranch_execz .LBB0_125
; %bb.124:
	s_bcnt1_i32_b64 s8, s[8:9]
	v_mov_b32_e32 v4, s8
	buffer_wbl2 sc0 sc1
	s_waitcnt vmcnt(0)
	global_atomic_add_x2 v[2:3], v[4:5], off offset:8 sc1
.LBB0_125:
	s_or_b64 exec, exec, s[10:11]
	s_waitcnt vmcnt(0)
	global_load_dwordx2 v[4:5], v[2:3], off offset:16
	s_waitcnt vmcnt(0)
	v_cmp_eq_u64_e32 vcc, 0, v[4:5]
	s_cbranch_vccnz .LBB0_127
; %bb.126:
	global_load_dword v2, v[2:3], off offset:24
	v_mov_b32_e32 v3, 0
	buffer_wbl2 sc0 sc1
	s_waitcnt vmcnt(0)
	global_store_dwordx2 v[4:5], v[2:3], off sc0 sc1
	v_and_b32_e32 v2, 0xffffff, v2
	s_nop 0
	v_readfirstlane_b32 m0, v2
	s_sendmsg sendmsg(MSG_INTERRUPT)
.LBB0_127:
	s_or_b64 exec, exec, s[6:7]
	v_lshl_add_u64 v[2:3], v[12:13], 0, v[28:29]
	s_branch .LBB0_131
.LBB0_128:                              ;   in Loop: Header=BB0_131 Depth=1
	s_or_b64 exec, exec, s[6:7]
	v_readfirstlane_b32 s6, v4
	s_cmp_eq_u32 s6, 0
	s_cbranch_scc1 .LBB0_130
; %bb.129:                              ;   in Loop: Header=BB0_131 Depth=1
	s_sleep 1
	s_cbranch_execnz .LBB0_131
	s_branch .LBB0_133
.LBB0_130:
	s_branch .LBB0_133
.LBB0_131:                              ; =>This Inner Loop Header: Depth=1
	v_mov_b32_e32 v4, 1
	s_and_saveexec_b64 s[6:7], s[0:1]
	s_cbranch_execz .LBB0_128
; %bb.132:                              ;   in Loop: Header=BB0_131 Depth=1
	global_load_dword v4, v[10:11], off offset:20 sc0 sc1
	s_waitcnt vmcnt(0)
	buffer_inv sc0 sc1
	v_and_b32_e32 v4, 1, v4
	s_branch .LBB0_128
.LBB0_133:
	global_load_dwordx2 v[2:3], v[2:3], off
	s_and_saveexec_b64 s[6:7], s[0:1]
	s_cbranch_execz .LBB0_136
; %bb.134:
	v_mov_b32_e32 v10, 0
	global_load_dwordx2 v[8:9], v10, s[2:3] offset:40
	global_load_dwordx2 v[12:13], v10, s[2:3] offset:24 sc0 sc1
	global_load_dwordx2 v[14:15], v10, s[2:3]
	s_mov_b64 s[0:1], 0
	s_waitcnt vmcnt(2)
	v_lshl_add_u64 v[4:5], v[8:9], 0, 1
	v_lshl_add_u64 v[16:17], v[4:5], 0, s[4:5]
	v_cmp_eq_u64_e32 vcc, 0, v[16:17]
	s_waitcnt vmcnt(1)
	v_mov_b32_e32 v6, v12
	v_cndmask_b32_e32 v5, v17, v5, vcc
	v_cndmask_b32_e32 v4, v16, v4, vcc
	v_and_b32_e32 v7, v5, v9
	v_and_b32_e32 v8, v4, v8
	v_mul_lo_u32 v7, v7, 24
	v_mul_hi_u32 v9, v8, 24
	v_mul_lo_u32 v8, v8, 24
	v_add_u32_e32 v9, v9, v7
	s_waitcnt vmcnt(0)
	v_lshl_add_u64 v[8:9], v[14:15], 0, v[8:9]
	global_store_dwordx2 v[8:9], v[12:13], off
	v_mov_b32_e32 v7, v13
	buffer_wbl2 sc0 sc1
	s_waitcnt vmcnt(0)
	global_atomic_cmpswap_x2 v[6:7], v10, v[4:7], s[2:3] offset:24 sc0 sc1
	s_waitcnt vmcnt(0)
	v_cmp_ne_u64_e32 vcc, v[6:7], v[12:13]
	s_and_b64 exec, exec, vcc
	s_cbranch_execz .LBB0_136
.LBB0_135:                              ; =>This Inner Loop Header: Depth=1
	s_sleep 1
	global_store_dwordx2 v[8:9], v[6:7], off
	buffer_wbl2 sc0 sc1
	s_waitcnt vmcnt(0)
	global_atomic_cmpswap_x2 v[12:13], v10, v[4:7], s[2:3] offset:24 sc0 sc1
	s_waitcnt vmcnt(0)
	v_cmp_eq_u64_e32 vcc, v[12:13], v[6:7]
	s_or_b64 s[0:1], vcc, s[0:1]
	v_mov_b64_e32 v[6:7], v[12:13]
	s_andn2_b64 exec, exec, s[0:1]
	s_cbranch_execnz .LBB0_135
.LBB0_136:
	s_or_b64 exec, exec, s[6:7]
.LBB0_137:
	s_mov_b64 s[6:7], 0
	v_cmp_ne_u64_e32 vcc, 0, v[0:1]
	v_mov_b64_e32 v[26:27], 0
	s_and_saveexec_b64 s[4:5], vcc
	s_cbranch_execnz .LBB0_162
; %bb.138:
	s_or_b64 exec, exec, s[4:5]
	s_and_saveexec_b64 s[0:1], vcc
	s_xor_b64 s[4:5], exec, s[0:1]
	s_cbranch_execnz .LBB0_165
.LBB0_139:
	s_andn2_saveexec_b64 s[4:5], s[4:5]
	s_cbranch_execz .LBB0_254
.LBB0_140:
	v_readfirstlane_b32 s0, v36
	v_mov_b64_e32 v[0:1], 0
	s_nop 0
	v_cmp_eq_u32_e64 s[0:1], s0, v36
	s_and_saveexec_b64 s[6:7], s[0:1]
	s_cbranch_execz .LBB0_146
; %bb.141:
	s_waitcnt vmcnt(0)
	v_mov_b32_e32 v4, 0
	global_load_dwordx2 v[8:9], v4, s[2:3] offset:24 sc0 sc1
	s_waitcnt vmcnt(0)
	buffer_inv sc0 sc1
	global_load_dwordx2 v[0:1], v4, s[2:3] offset:40
	global_load_dwordx2 v[6:7], v4, s[2:3]
	s_waitcnt vmcnt(1)
	v_and_b32_e32 v0, v0, v8
	v_and_b32_e32 v1, v1, v9
	v_mul_lo_u32 v1, v1, 24
	v_mul_hi_u32 v5, v0, 24
	v_add_u32_e32 v1, v5, v1
	v_mul_lo_u32 v0, v0, 24
	s_waitcnt vmcnt(0)
	v_lshl_add_u64 v[0:1], v[6:7], 0, v[0:1]
	global_load_dwordx2 v[6:7], v[0:1], off sc0 sc1
	s_waitcnt vmcnt(0)
	global_atomic_cmpswap_x2 v[0:1], v4, v[6:9], s[2:3] offset:24 sc0 sc1
	s_waitcnt vmcnt(0)
	buffer_inv sc0 sc1
	v_cmp_ne_u64_e32 vcc, v[0:1], v[8:9]
	s_and_saveexec_b64 s[8:9], vcc
	s_cbranch_execz .LBB0_145
; %bb.142:
	s_mov_b64 s[10:11], 0
.LBB0_143:                              ; =>This Inner Loop Header: Depth=1
	s_sleep 1
	global_load_dwordx2 v[6:7], v4, s[2:3] offset:40
	global_load_dwordx2 v[10:11], v4, s[2:3]
	v_mov_b64_e32 v[8:9], v[0:1]
	s_waitcnt vmcnt(1)
	v_and_b32_e32 v0, v6, v8
	s_waitcnt vmcnt(0)
	v_mad_u64_u32 v[0:1], s[12:13], v0, 24, v[10:11]
	v_and_b32_e32 v5, v7, v9
	v_mov_b32_e32 v6, v1
	v_mad_u64_u32 v[6:7], s[12:13], v5, 24, v[6:7]
	v_mov_b32_e32 v1, v6
	global_load_dwordx2 v[6:7], v[0:1], off sc0 sc1
	s_waitcnt vmcnt(0)
	global_atomic_cmpswap_x2 v[0:1], v4, v[6:9], s[2:3] offset:24 sc0 sc1
	s_waitcnt vmcnt(0)
	buffer_inv sc0 sc1
	v_cmp_eq_u64_e32 vcc, v[0:1], v[8:9]
	s_or_b64 s[10:11], vcc, s[10:11]
	s_andn2_b64 exec, exec, s[10:11]
	s_cbranch_execnz .LBB0_143
; %bb.144:
	s_or_b64 exec, exec, s[10:11]
.LBB0_145:
	s_or_b64 exec, exec, s[8:9]
.LBB0_146:
	s_or_b64 exec, exec, s[6:7]
	s_waitcnt vmcnt(0)
	v_mov_b32_e32 v4, 0
	global_load_dwordx2 v[10:11], v4, s[2:3] offset:40
	global_load_dwordx4 v[6:9], v4, s[2:3]
	v_readfirstlane_b32 s6, v0
	v_readfirstlane_b32 s7, v1
	s_mov_b64 s[8:9], exec
	s_waitcnt vmcnt(1)
	v_readfirstlane_b32 s10, v10
	v_readfirstlane_b32 s11, v11
	s_and_b64 s[10:11], s[6:7], s[10:11]
	s_mul_i32 s12, s11, 24
	s_mul_hi_u32 s13, s10, 24
	s_add_i32 s13, s13, s12
	s_mul_i32 s12, s10, 24
	s_waitcnt vmcnt(0)
	v_lshl_add_u64 v[10:11], v[6:7], 0, s[12:13]
	s_and_saveexec_b64 s[12:13], s[0:1]
	s_cbranch_execz .LBB0_148
; %bb.147:
	v_mov_b64_e32 v[12:13], s[8:9]
	v_mov_b32_e32 v14, 2
	v_mov_b32_e32 v15, 1
	global_store_dwordx4 v[10:11], v[12:15], off offset:8
.LBB0_148:
	s_or_b64 exec, exec, s[12:13]
	s_lshl_b64 s[8:9], s[10:11], 12
	v_lshl_add_u64 v[0:1], v[8:9], 0, s[8:9]
	s_movk_i32 s8, 0xff1d
	v_and_or_b32 v2, v2, s8, 34
	s_mov_b32 s8, 0
	v_mov_b32_e32 v5, v4
	v_readfirstlane_b32 s12, v0
	v_readfirstlane_b32 s13, v1
	s_mov_b32 s9, s8
	s_mov_b32 s10, s8
	s_mov_b32 s11, s8
	s_nop 1
	global_store_dwordx4 v28, v[2:5], s[12:13]
	v_mov_b64_e32 v[0:1], s[8:9]
	s_nop 0
	v_mov_b64_e32 v[2:3], s[10:11]
	global_store_dwordx4 v28, v[0:3], s[12:13] offset:16
	global_store_dwordx4 v28, v[0:3], s[12:13] offset:32
	;; [unrolled: 1-line block ×3, first 2 shown]
	s_and_saveexec_b64 s[8:9], s[0:1]
	s_cbranch_execz .LBB0_156
; %bb.149:
	v_mov_b32_e32 v8, 0
	global_load_dwordx2 v[14:15], v8, s[2:3] offset:32 sc0 sc1
	global_load_dwordx2 v[0:1], v8, s[2:3] offset:40
	v_mov_b32_e32 v12, s6
	v_mov_b32_e32 v13, s7
	s_waitcnt vmcnt(0)
	v_readfirstlane_b32 s10, v0
	v_readfirstlane_b32 s11, v1
	s_and_b64 s[10:11], s[10:11], s[6:7]
	s_mul_i32 s11, s11, 24
	s_mul_hi_u32 s12, s10, 24
	s_mul_i32 s10, s10, 24
	s_add_i32 s11, s12, s11
	v_lshl_add_u64 v[4:5], v[6:7], 0, s[10:11]
	global_store_dwordx2 v[4:5], v[14:15], off
	buffer_wbl2 sc0 sc1
	s_waitcnt vmcnt(0)
	global_atomic_cmpswap_x2 v[2:3], v8, v[12:15], s[2:3] offset:32 sc0 sc1
	s_waitcnt vmcnt(0)
	v_cmp_ne_u64_e32 vcc, v[2:3], v[14:15]
	s_and_saveexec_b64 s[10:11], vcc
	s_cbranch_execz .LBB0_152
; %bb.150:
	s_mov_b64 s[12:13], 0
.LBB0_151:                              ; =>This Inner Loop Header: Depth=1
	s_sleep 1
	global_store_dwordx2 v[4:5], v[2:3], off
	v_mov_b32_e32 v0, s6
	v_mov_b32_e32 v1, s7
	buffer_wbl2 sc0 sc1
	s_waitcnt vmcnt(0)
	global_atomic_cmpswap_x2 v[0:1], v8, v[0:3], s[2:3] offset:32 sc0 sc1
	s_waitcnt vmcnt(0)
	v_cmp_eq_u64_e32 vcc, v[0:1], v[2:3]
	s_or_b64 s[12:13], vcc, s[12:13]
	v_mov_b64_e32 v[2:3], v[0:1]
	s_andn2_b64 exec, exec, s[12:13]
	s_cbranch_execnz .LBB0_151
.LBB0_152:
	s_or_b64 exec, exec, s[10:11]
	v_mov_b32_e32 v3, 0
	global_load_dwordx2 v[0:1], v3, s[2:3] offset:16
	s_mov_b64 s[10:11], exec
	v_mbcnt_lo_u32_b32 v2, s10, 0
	v_mbcnt_hi_u32_b32 v2, s11, v2
	v_cmp_eq_u32_e32 vcc, 0, v2
	s_and_saveexec_b64 s[12:13], vcc
	s_cbranch_execz .LBB0_154
; %bb.153:
	s_bcnt1_i32_b64 s10, s[10:11]
	v_mov_b32_e32 v2, s10
	buffer_wbl2 sc0 sc1
	s_waitcnt vmcnt(0)
	global_atomic_add_x2 v[0:1], v[2:3], off offset:8 sc1
.LBB0_154:
	s_or_b64 exec, exec, s[12:13]
	s_waitcnt vmcnt(0)
	global_load_dwordx2 v[2:3], v[0:1], off offset:16
	s_waitcnt vmcnt(0)
	v_cmp_eq_u64_e32 vcc, 0, v[2:3]
	s_cbranch_vccnz .LBB0_156
; %bb.155:
	global_load_dword v0, v[0:1], off offset:24
	v_mov_b32_e32 v1, 0
	buffer_wbl2 sc0 sc1
	s_waitcnt vmcnt(0)
	global_store_dwordx2 v[2:3], v[0:1], off sc0 sc1
	v_and_b32_e32 v0, 0xffffff, v0
	s_nop 0
	v_readfirstlane_b32 m0, v0
	s_sendmsg sendmsg(MSG_INTERRUPT)
.LBB0_156:
	s_or_b64 exec, exec, s[8:9]
	s_branch .LBB0_160
.LBB0_157:                              ;   in Loop: Header=BB0_160 Depth=1
	s_or_b64 exec, exec, s[8:9]
	v_readfirstlane_b32 s8, v0
	s_cmp_eq_u32 s8, 0
	s_cbranch_scc1 .LBB0_159
; %bb.158:                              ;   in Loop: Header=BB0_160 Depth=1
	s_sleep 1
	s_cbranch_execnz .LBB0_160
	s_branch .LBB0_249
.LBB0_159:
	s_branch .LBB0_249
.LBB0_160:                              ; =>This Inner Loop Header: Depth=1
	v_mov_b32_e32 v0, 1
	s_and_saveexec_b64 s[8:9], s[0:1]
	s_cbranch_execz .LBB0_157
; %bb.161:                              ;   in Loop: Header=BB0_160 Depth=1
	global_load_dword v0, v[10:11], off offset:20 sc0 sc1
	s_waitcnt vmcnt(0)
	buffer_inv sc0 sc1
	v_and_b32_e32 v0, 1, v0
	s_branch .LBB0_157
.LBB0_162:
	s_waitcnt vmcnt(0)
	v_lshl_add_u64 v[4:5], v[0:1], 0, -1
.LBB0_163:                              ; =>This Inner Loop Header: Depth=1
	flat_load_ubyte v6, v[4:5] offset:1
	v_lshl_add_u64 v[4:5], v[4:5], 0, 1
	s_waitcnt vmcnt(0) lgkmcnt(0)
	v_cmp_eq_u16_e64 s[0:1], 0, v6
	s_or_b64 s[6:7], s[0:1], s[6:7]
	s_andn2_b64 exec, exec, s[6:7]
	s_cbranch_execnz .LBB0_163
; %bb.164:
	s_or_b64 exec, exec, s[6:7]
	v_sub_co_u32_e64 v4, s[0:1], v4, v0
	s_nop 1
	v_subb_co_u32_e64 v5, s[0:1], v5, v1, s[0:1]
	v_lshl_add_u64 v[26:27], v[4:5], 0, 1
	s_or_b64 exec, exec, s[4:5]
	s_and_saveexec_b64 s[0:1], vcc
	s_xor_b64 s[4:5], exec, s[0:1]
	s_cbranch_execz .LBB0_139
.LBB0_165:
	s_waitcnt vmcnt(0)
	v_and_b32_e32 v2, -3, v2
	s_mov_b64 s[6:7], 0
	s_mov_b32 s16, 0
	v_mov_b32_e32 v29, 0
	s_movk_i32 s17, 0xff1f
	v_mov_b32_e32 v8, 2
	v_mov_b32_e32 v9, 1
	s_branch .LBB0_167
.LBB0_166:                              ;   in Loop: Header=BB0_167 Depth=1
	s_or_b64 exec, exec, s[10:11]
	v_sub_co_u32_e32 v26, vcc, v26, v30
	v_lshl_add_u64 v[0:1], v[0:1], 0, v[30:31]
	s_nop 0
	v_subb_co_u32_e32 v27, vcc, v27, v31, vcc
	v_cmp_eq_u64_e32 vcc, 0, v[26:27]
	s_or_b64 s[6:7], vcc, s[6:7]
	s_andn2_b64 exec, exec, s[6:7]
	s_cbranch_execz .LBB0_253
.LBB0_167:                              ; =>This Loop Header: Depth=1
                                        ;     Child Loop BB0_170 Depth 2
                                        ;     Child Loop BB0_178 Depth 2
	;; [unrolled: 1-line block ×11, first 2 shown]
	v_cmp_gt_u64_e32 vcc, 56, v[26:27]
                                        ; implicit-def: $sgpr8
	s_nop 1
	v_cndmask_b32_e32 v31, 0, v27, vcc
	v_cndmask_b32_e32 v30, 56, v26, vcc
	v_cmp_gt_u64_e32 vcc, 8, v[26:27]
	s_and_saveexec_b64 s[0:1], vcc
	s_xor_b64 s[0:1], exec, s[0:1]
	s_cbranch_execz .LBB0_173
; %bb.168:                              ;   in Loop: Header=BB0_167 Depth=1
	s_mov_b64 s[10:11], 0
	v_cmp_ne_u64_e32 vcc, 0, v[26:27]
	s_waitcnt vmcnt(0)
	v_mov_b64_e32 v[4:5], 0
	s_and_saveexec_b64 s[8:9], vcc
	s_cbranch_execz .LBB0_172
; %bb.169:                              ;   in Loop: Header=BB0_167 Depth=1
	v_lshlrev_b64 v[6:7], 3, v[30:31]
	v_mov_b64_e32 v[4:5], 0
	v_mov_b64_e32 v[10:11], v[0:1]
	s_mov_b64 s[12:13], 0
.LBB0_170:                              ;   Parent Loop BB0_167 Depth=1
                                        ; =>  This Inner Loop Header: Depth=2
	flat_load_ubyte v7, v[10:11]
	v_mov_b32_e32 v13, s16
	v_lshl_add_u64 v[10:11], v[10:11], 0, 1
	s_waitcnt vmcnt(0) lgkmcnt(0)
	v_and_b32_e32 v12, 0xffff, v7
	v_lshlrev_b64 v[12:13], s12, v[12:13]
	s_add_u32 s12, s12, 8
	s_addc_u32 s13, s13, 0
	v_cmp_eq_u32_e32 vcc, s12, v6
	v_or_b32_e32 v5, v13, v5
	s_or_b64 s[10:11], vcc, s[10:11]
	v_or_b32_e32 v4, v12, v4
	s_andn2_b64 exec, exec, s[10:11]
	s_cbranch_execnz .LBB0_170
; %bb.171:                              ;   in Loop: Header=BB0_167 Depth=1
	s_or_b64 exec, exec, s[10:11]
.LBB0_172:                              ;   in Loop: Header=BB0_167 Depth=1
	s_or_b64 exec, exec, s[8:9]
	s_mov_b32 s8, 0
.LBB0_173:                              ;   in Loop: Header=BB0_167 Depth=1
	s_or_saveexec_b64 s[0:1], s[0:1]
	v_mov_b32_e32 v12, s8
	v_mov_b64_e32 v[6:7], v[0:1]
	s_xor_b64 exec, exec, s[0:1]
	s_cbranch_execz .LBB0_175
; %bb.174:                              ;   in Loop: Header=BB0_167 Depth=1
	s_waitcnt vmcnt(0)
	flat_load_dwordx2 v[4:5], v[0:1]
	v_add_u32_e32 v12, -8, v30
	s_waitcnt vmcnt(0) lgkmcnt(0)
	v_and_b32_e32 v6, 0xff, v5
	v_and_b32_e32 v7, 0xff00, v5
	;; [unrolled: 1-line block ×4, first 2 shown]
	v_or_b32_e32 v6, v6, v7
	v_or3_b32 v4, v4, 0, 0
	v_or3_b32 v5, v6, v10, v5
	v_lshl_add_u64 v[6:7], v[0:1], 0, 8
.LBB0_175:                              ;   in Loop: Header=BB0_167 Depth=1
	s_or_b64 exec, exec, s[0:1]
	v_cmp_gt_u32_e32 vcc, 8, v12
                                        ; implicit-def: $vgpr10_vgpr11
                                        ; implicit-def: $sgpr8
	s_and_saveexec_b64 s[0:1], vcc
	s_xor_b64 s[0:1], exec, s[0:1]
	s_cbranch_execz .LBB0_181
; %bb.176:                              ;   in Loop: Header=BB0_167 Depth=1
	v_cmp_ne_u32_e32 vcc, 0, v12
	v_mov_b64_e32 v[10:11], 0
	s_and_saveexec_b64 s[8:9], vcc
	s_cbranch_execz .LBB0_180
; %bb.177:                              ;   in Loop: Header=BB0_167 Depth=1
	s_mov_b64 s[10:11], 0
	v_mov_b64_e32 v[10:11], 0
	s_mov_b64 s[12:13], 0
	s_mov_b64 s[14:15], 0
.LBB0_178:                              ;   Parent Loop BB0_167 Depth=1
                                        ; =>  This Inner Loop Header: Depth=2
	v_lshl_add_u64 v[14:15], v[6:7], 0, s[14:15]
	flat_load_ubyte v13, v[14:15]
	s_add_u32 s14, s14, 1
	v_mov_b32_e32 v15, s16
	s_addc_u32 s15, s15, 0
	v_cmp_eq_u32_e32 vcc, s14, v12
	s_waitcnt vmcnt(0) lgkmcnt(0)
	v_and_b32_e32 v14, 0xffff, v13
	v_lshlrev_b64 v[14:15], s12, v[14:15]
	s_add_u32 s12, s12, 8
	s_addc_u32 s13, s13, 0
	v_or_b32_e32 v11, v15, v11
	s_or_b64 s[10:11], vcc, s[10:11]
	v_or_b32_e32 v10, v14, v10
	s_andn2_b64 exec, exec, s[10:11]
	s_cbranch_execnz .LBB0_178
; %bb.179:                              ;   in Loop: Header=BB0_167 Depth=1
	s_or_b64 exec, exec, s[10:11]
.LBB0_180:                              ;   in Loop: Header=BB0_167 Depth=1
	s_or_b64 exec, exec, s[8:9]
	s_mov_b32 s8, 0
                                        ; implicit-def: $vgpr12
.LBB0_181:                              ;   in Loop: Header=BB0_167 Depth=1
	s_or_saveexec_b64 s[0:1], s[0:1]
	v_mov_b32_e32 v14, s8
	s_xor_b64 exec, exec, s[0:1]
	s_cbranch_execz .LBB0_183
; %bb.182:                              ;   in Loop: Header=BB0_167 Depth=1
	flat_load_dwordx2 v[10:11], v[6:7]
	v_add_u32_e32 v14, -8, v12
	v_lshl_add_u64 v[6:7], v[6:7], 0, 8
	s_waitcnt vmcnt(0) lgkmcnt(0)
	v_and_b32_e32 v12, 0xff, v11
	v_and_b32_e32 v13, 0xff00, v11
	;; [unrolled: 1-line block ×4, first 2 shown]
	v_or_b32_e32 v12, v12, v13
	v_or3_b32 v10, v10, 0, 0
	v_or3_b32 v11, v12, v15, v11
.LBB0_183:                              ;   in Loop: Header=BB0_167 Depth=1
	s_or_b64 exec, exec, s[0:1]
	v_cmp_gt_u32_e32 vcc, 8, v14
                                        ; implicit-def: $sgpr8
	s_and_saveexec_b64 s[0:1], vcc
	s_xor_b64 s[0:1], exec, s[0:1]
	s_cbranch_execz .LBB0_189
; %bb.184:                              ;   in Loop: Header=BB0_167 Depth=1
	v_cmp_ne_u32_e32 vcc, 0, v14
	v_mov_b64_e32 v[12:13], 0
	s_and_saveexec_b64 s[8:9], vcc
	s_cbranch_execz .LBB0_188
; %bb.185:                              ;   in Loop: Header=BB0_167 Depth=1
	s_mov_b64 s[10:11], 0
	v_mov_b64_e32 v[12:13], 0
	s_mov_b64 s[12:13], 0
	s_mov_b64 s[14:15], 0
.LBB0_186:                              ;   Parent Loop BB0_167 Depth=1
                                        ; =>  This Inner Loop Header: Depth=2
	v_lshl_add_u64 v[16:17], v[6:7], 0, s[14:15]
	flat_load_ubyte v15, v[16:17]
	s_add_u32 s14, s14, 1
	v_mov_b32_e32 v17, s16
	s_addc_u32 s15, s15, 0
	v_cmp_eq_u32_e32 vcc, s14, v14
	s_waitcnt vmcnt(0) lgkmcnt(0)
	v_and_b32_e32 v16, 0xffff, v15
	v_lshlrev_b64 v[16:17], s12, v[16:17]
	s_add_u32 s12, s12, 8
	s_addc_u32 s13, s13, 0
	v_or_b32_e32 v13, v17, v13
	s_or_b64 s[10:11], vcc, s[10:11]
	v_or_b32_e32 v12, v16, v12
	s_andn2_b64 exec, exec, s[10:11]
	s_cbranch_execnz .LBB0_186
; %bb.187:                              ;   in Loop: Header=BB0_167 Depth=1
	s_or_b64 exec, exec, s[10:11]
.LBB0_188:                              ;   in Loop: Header=BB0_167 Depth=1
	s_or_b64 exec, exec, s[8:9]
	s_mov_b32 s8, 0
                                        ; implicit-def: $vgpr14
.LBB0_189:                              ;   in Loop: Header=BB0_167 Depth=1
	s_or_saveexec_b64 s[0:1], s[0:1]
	v_mov_b32_e32 v16, s8
	s_xor_b64 exec, exec, s[0:1]
	s_cbranch_execz .LBB0_191
; %bb.190:                              ;   in Loop: Header=BB0_167 Depth=1
	flat_load_dwordx2 v[12:13], v[6:7]
	v_add_u32_e32 v16, -8, v14
	v_lshl_add_u64 v[6:7], v[6:7], 0, 8
	s_waitcnt vmcnt(0) lgkmcnt(0)
	v_and_b32_e32 v14, 0xff, v13
	v_and_b32_e32 v15, 0xff00, v13
	;; [unrolled: 1-line block ×4, first 2 shown]
	v_or_b32_e32 v14, v14, v15
	v_or3_b32 v12, v12, 0, 0
	v_or3_b32 v13, v14, v17, v13
.LBB0_191:                              ;   in Loop: Header=BB0_167 Depth=1
	s_or_b64 exec, exec, s[0:1]
	v_cmp_gt_u32_e32 vcc, 8, v16
                                        ; implicit-def: $vgpr14_vgpr15
                                        ; implicit-def: $sgpr8
	s_and_saveexec_b64 s[0:1], vcc
	s_xor_b64 s[0:1], exec, s[0:1]
	s_cbranch_execz .LBB0_197
; %bb.192:                              ;   in Loop: Header=BB0_167 Depth=1
	v_cmp_ne_u32_e32 vcc, 0, v16
	v_mov_b64_e32 v[14:15], 0
	s_and_saveexec_b64 s[8:9], vcc
	s_cbranch_execz .LBB0_196
; %bb.193:                              ;   in Loop: Header=BB0_167 Depth=1
	s_mov_b64 s[10:11], 0
	v_mov_b64_e32 v[14:15], 0
	s_mov_b64 s[12:13], 0
	s_mov_b64 s[14:15], 0
.LBB0_194:                              ;   Parent Loop BB0_167 Depth=1
                                        ; =>  This Inner Loop Header: Depth=2
	v_lshl_add_u64 v[18:19], v[6:7], 0, s[14:15]
	flat_load_ubyte v17, v[18:19]
	s_add_u32 s14, s14, 1
	v_mov_b32_e32 v19, s16
	s_addc_u32 s15, s15, 0
	v_cmp_eq_u32_e32 vcc, s14, v16
	s_waitcnt vmcnt(0) lgkmcnt(0)
	v_and_b32_e32 v18, 0xffff, v17
	v_lshlrev_b64 v[18:19], s12, v[18:19]
	s_add_u32 s12, s12, 8
	s_addc_u32 s13, s13, 0
	v_or_b32_e32 v15, v19, v15
	s_or_b64 s[10:11], vcc, s[10:11]
	v_or_b32_e32 v14, v18, v14
	s_andn2_b64 exec, exec, s[10:11]
	s_cbranch_execnz .LBB0_194
; %bb.195:                              ;   in Loop: Header=BB0_167 Depth=1
	s_or_b64 exec, exec, s[10:11]
.LBB0_196:                              ;   in Loop: Header=BB0_167 Depth=1
	s_or_b64 exec, exec, s[8:9]
	s_mov_b32 s8, 0
                                        ; implicit-def: $vgpr16
.LBB0_197:                              ;   in Loop: Header=BB0_167 Depth=1
	s_or_saveexec_b64 s[0:1], s[0:1]
	v_mov_b32_e32 v18, s8
	s_xor_b64 exec, exec, s[0:1]
	s_cbranch_execz .LBB0_199
; %bb.198:                              ;   in Loop: Header=BB0_167 Depth=1
	flat_load_dwordx2 v[14:15], v[6:7]
	v_add_u32_e32 v18, -8, v16
	v_lshl_add_u64 v[6:7], v[6:7], 0, 8
	s_waitcnt vmcnt(0) lgkmcnt(0)
	v_and_b32_e32 v16, 0xff, v15
	v_and_b32_e32 v17, 0xff00, v15
	;; [unrolled: 1-line block ×4, first 2 shown]
	v_or_b32_e32 v16, v16, v17
	v_or3_b32 v14, v14, 0, 0
	v_or3_b32 v15, v16, v19, v15
.LBB0_199:                              ;   in Loop: Header=BB0_167 Depth=1
	s_or_b64 exec, exec, s[0:1]
	v_cmp_gt_u32_e32 vcc, 8, v18
                                        ; implicit-def: $sgpr8
	s_and_saveexec_b64 s[0:1], vcc
	s_xor_b64 s[0:1], exec, s[0:1]
	s_cbranch_execz .LBB0_205
; %bb.200:                              ;   in Loop: Header=BB0_167 Depth=1
	v_cmp_ne_u32_e32 vcc, 0, v18
	v_mov_b64_e32 v[16:17], 0
	s_and_saveexec_b64 s[8:9], vcc
	s_cbranch_execz .LBB0_204
; %bb.201:                              ;   in Loop: Header=BB0_167 Depth=1
	s_mov_b64 s[10:11], 0
	v_mov_b64_e32 v[16:17], 0
	s_mov_b64 s[12:13], 0
	s_mov_b64 s[14:15], 0
.LBB0_202:                              ;   Parent Loop BB0_167 Depth=1
                                        ; =>  This Inner Loop Header: Depth=2
	v_lshl_add_u64 v[20:21], v[6:7], 0, s[14:15]
	flat_load_ubyte v19, v[20:21]
	s_add_u32 s14, s14, 1
	v_mov_b32_e32 v21, s16
	s_addc_u32 s15, s15, 0
	v_cmp_eq_u32_e32 vcc, s14, v18
	s_waitcnt vmcnt(0) lgkmcnt(0)
	v_and_b32_e32 v20, 0xffff, v19
	v_lshlrev_b64 v[20:21], s12, v[20:21]
	s_add_u32 s12, s12, 8
	s_addc_u32 s13, s13, 0
	v_or_b32_e32 v17, v21, v17
	s_or_b64 s[10:11], vcc, s[10:11]
	v_or_b32_e32 v16, v20, v16
	s_andn2_b64 exec, exec, s[10:11]
	s_cbranch_execnz .LBB0_202
; %bb.203:                              ;   in Loop: Header=BB0_167 Depth=1
	s_or_b64 exec, exec, s[10:11]
.LBB0_204:                              ;   in Loop: Header=BB0_167 Depth=1
	s_or_b64 exec, exec, s[8:9]
	s_mov_b32 s8, 0
                                        ; implicit-def: $vgpr18
.LBB0_205:                              ;   in Loop: Header=BB0_167 Depth=1
	s_or_saveexec_b64 s[0:1], s[0:1]
	v_mov_b32_e32 v20, s8
	s_xor_b64 exec, exec, s[0:1]
	s_cbranch_execz .LBB0_207
; %bb.206:                              ;   in Loop: Header=BB0_167 Depth=1
	flat_load_dwordx2 v[16:17], v[6:7]
	v_add_u32_e32 v20, -8, v18
	v_lshl_add_u64 v[6:7], v[6:7], 0, 8
	s_waitcnt vmcnt(0) lgkmcnt(0)
	v_and_b32_e32 v18, 0xff, v17
	v_and_b32_e32 v19, 0xff00, v17
	;; [unrolled: 1-line block ×4, first 2 shown]
	v_or_b32_e32 v18, v18, v19
	v_or3_b32 v16, v16, 0, 0
	v_or3_b32 v17, v18, v21, v17
.LBB0_207:                              ;   in Loop: Header=BB0_167 Depth=1
	s_or_b64 exec, exec, s[0:1]
	v_cmp_gt_u32_e32 vcc, 8, v20
                                        ; implicit-def: $vgpr18_vgpr19
                                        ; implicit-def: $sgpr8
	s_and_saveexec_b64 s[0:1], vcc
	s_xor_b64 s[0:1], exec, s[0:1]
	s_cbranch_execz .LBB0_213
; %bb.208:                              ;   in Loop: Header=BB0_167 Depth=1
	v_cmp_ne_u32_e32 vcc, 0, v20
	v_mov_b64_e32 v[18:19], 0
	s_and_saveexec_b64 s[8:9], vcc
	s_cbranch_execz .LBB0_212
; %bb.209:                              ;   in Loop: Header=BB0_167 Depth=1
	s_mov_b64 s[10:11], 0
	v_mov_b64_e32 v[18:19], 0
	s_mov_b64 s[12:13], 0
	s_mov_b64 s[14:15], 0
.LBB0_210:                              ;   Parent Loop BB0_167 Depth=1
                                        ; =>  This Inner Loop Header: Depth=2
	v_lshl_add_u64 v[22:23], v[6:7], 0, s[14:15]
	flat_load_ubyte v21, v[22:23]
	s_add_u32 s14, s14, 1
	v_mov_b32_e32 v23, s16
	s_addc_u32 s15, s15, 0
	v_cmp_eq_u32_e32 vcc, s14, v20
	s_waitcnt vmcnt(0) lgkmcnt(0)
	v_and_b32_e32 v22, 0xffff, v21
	v_lshlrev_b64 v[22:23], s12, v[22:23]
	s_add_u32 s12, s12, 8
	s_addc_u32 s13, s13, 0
	v_or_b32_e32 v19, v23, v19
	s_or_b64 s[10:11], vcc, s[10:11]
	v_or_b32_e32 v18, v22, v18
	s_andn2_b64 exec, exec, s[10:11]
	s_cbranch_execnz .LBB0_210
; %bb.211:                              ;   in Loop: Header=BB0_167 Depth=1
	s_or_b64 exec, exec, s[10:11]
.LBB0_212:                              ;   in Loop: Header=BB0_167 Depth=1
	s_or_b64 exec, exec, s[8:9]
	s_mov_b32 s8, 0
                                        ; implicit-def: $vgpr20
.LBB0_213:                              ;   in Loop: Header=BB0_167 Depth=1
	s_or_saveexec_b64 s[0:1], s[0:1]
	v_mov_b32_e32 v22, s8
	s_xor_b64 exec, exec, s[0:1]
	s_cbranch_execz .LBB0_215
; %bb.214:                              ;   in Loop: Header=BB0_167 Depth=1
	flat_load_dwordx2 v[18:19], v[6:7]
	v_add_u32_e32 v22, -8, v20
	v_lshl_add_u64 v[6:7], v[6:7], 0, 8
	s_waitcnt vmcnt(0) lgkmcnt(0)
	v_and_b32_e32 v20, 0xff, v19
	v_and_b32_e32 v21, 0xff00, v19
	;; [unrolled: 1-line block ×4, first 2 shown]
	v_or_b32_e32 v20, v20, v21
	v_or3_b32 v18, v18, 0, 0
	v_or3_b32 v19, v20, v23, v19
.LBB0_215:                              ;   in Loop: Header=BB0_167 Depth=1
	s_or_b64 exec, exec, s[0:1]
	v_cmp_gt_u32_e32 vcc, 8, v22
	s_and_saveexec_b64 s[0:1], vcc
	s_xor_b64 s[0:1], exec, s[0:1]
	s_cbranch_execz .LBB0_221
; %bb.216:                              ;   in Loop: Header=BB0_167 Depth=1
	v_cmp_ne_u32_e32 vcc, 0, v22
	v_mov_b64_e32 v[20:21], 0
	s_and_saveexec_b64 s[8:9], vcc
	s_cbranch_execz .LBB0_220
; %bb.217:                              ;   in Loop: Header=BB0_167 Depth=1
	s_mov_b64 s[10:11], 0
	v_mov_b64_e32 v[20:21], 0
	s_mov_b64 s[12:13], 0
.LBB0_218:                              ;   Parent Loop BB0_167 Depth=1
                                        ; =>  This Inner Loop Header: Depth=2
	flat_load_ubyte v23, v[6:7]
	v_mov_b32_e32 v25, s16
	v_add_u32_e32 v22, -1, v22
	v_cmp_eq_u32_e32 vcc, 0, v22
	v_lshl_add_u64 v[6:7], v[6:7], 0, 1
	s_waitcnt vmcnt(0) lgkmcnt(0)
	v_and_b32_e32 v24, 0xffff, v23
	v_lshlrev_b64 v[24:25], s12, v[24:25]
	s_add_u32 s12, s12, 8
	s_addc_u32 s13, s13, 0
	v_or_b32_e32 v21, v25, v21
	s_or_b64 s[10:11], vcc, s[10:11]
	v_or_b32_e32 v20, v24, v20
	s_andn2_b64 exec, exec, s[10:11]
	s_cbranch_execnz .LBB0_218
; %bb.219:                              ;   in Loop: Header=BB0_167 Depth=1
	s_or_b64 exec, exec, s[10:11]
.LBB0_220:                              ;   in Loop: Header=BB0_167 Depth=1
	s_or_b64 exec, exec, s[8:9]
                                        ; implicit-def: $vgpr6_vgpr7
.LBB0_221:                              ;   in Loop: Header=BB0_167 Depth=1
	s_andn2_saveexec_b64 s[0:1], s[0:1]
	s_cbranch_execz .LBB0_223
; %bb.222:                              ;   in Loop: Header=BB0_167 Depth=1
	flat_load_dwordx2 v[6:7], v[6:7]
	s_waitcnt vmcnt(0) lgkmcnt(0)
	v_and_b32_e32 v20, 0xff, v7
	v_and_b32_e32 v21, 0xff00, v7
	;; [unrolled: 1-line block ×4, first 2 shown]
	v_or_b32_e32 v20, v20, v21
	v_or3_b32 v21, v20, v22, v7
	v_or3_b32 v20, v6, 0, 0
.LBB0_223:                              ;   in Loop: Header=BB0_167 Depth=1
	s_or_b64 exec, exec, s[0:1]
	v_readfirstlane_b32 s0, v36
	v_mov_b64_e32 v[6:7], 0
	s_nop 0
	v_cmp_eq_u32_e64 s[0:1], s0, v36
	s_and_saveexec_b64 s[8:9], s[0:1]
	s_cbranch_execz .LBB0_229
; %bb.224:                              ;   in Loop: Header=BB0_167 Depth=1
	global_load_dwordx2 v[24:25], v29, s[2:3] offset:24 sc0 sc1
	s_waitcnt vmcnt(0)
	buffer_inv sc0 sc1
	global_load_dwordx2 v[6:7], v29, s[2:3] offset:40
	global_load_dwordx2 v[22:23], v29, s[2:3]
	s_waitcnt vmcnt(1)
	v_and_b32_e32 v6, v6, v24
	v_and_b32_e32 v7, v7, v25
	v_mul_lo_u32 v7, v7, 24
	v_mul_hi_u32 v32, v6, 24
	v_add_u32_e32 v7, v32, v7
	v_mul_lo_u32 v6, v6, 24
	s_waitcnt vmcnt(0)
	v_lshl_add_u64 v[6:7], v[22:23], 0, v[6:7]
	global_load_dwordx2 v[22:23], v[6:7], off sc0 sc1
	s_waitcnt vmcnt(0)
	global_atomic_cmpswap_x2 v[6:7], v29, v[22:25], s[2:3] offset:24 sc0 sc1
	s_waitcnt vmcnt(0)
	buffer_inv sc0 sc1
	v_cmp_ne_u64_e32 vcc, v[6:7], v[24:25]
	s_and_saveexec_b64 s[10:11], vcc
	s_cbranch_execz .LBB0_228
; %bb.225:                              ;   in Loop: Header=BB0_167 Depth=1
	s_mov_b64 s[12:13], 0
.LBB0_226:                              ;   Parent Loop BB0_167 Depth=1
                                        ; =>  This Inner Loop Header: Depth=2
	s_sleep 1
	global_load_dwordx2 v[22:23], v29, s[2:3] offset:40
	global_load_dwordx2 v[32:33], v29, s[2:3]
	v_mov_b64_e32 v[24:25], v[6:7]
	s_waitcnt vmcnt(1)
	v_and_b32_e32 v6, v22, v24
	s_waitcnt vmcnt(0)
	v_mad_u64_u32 v[6:7], s[14:15], v6, 24, v[32:33]
	v_and_b32_e32 v23, v23, v25
	v_mov_b32_e32 v22, v7
	v_mad_u64_u32 v[22:23], s[14:15], v23, 24, v[22:23]
	v_mov_b32_e32 v7, v22
	global_load_dwordx2 v[22:23], v[6:7], off sc0 sc1
	s_waitcnt vmcnt(0)
	global_atomic_cmpswap_x2 v[6:7], v29, v[22:25], s[2:3] offset:24 sc0 sc1
	s_waitcnt vmcnt(0)
	buffer_inv sc0 sc1
	v_cmp_eq_u64_e32 vcc, v[6:7], v[24:25]
	s_or_b64 s[12:13], vcc, s[12:13]
	s_andn2_b64 exec, exec, s[12:13]
	s_cbranch_execnz .LBB0_226
; %bb.227:                              ;   in Loop: Header=BB0_167 Depth=1
	s_or_b64 exec, exec, s[12:13]
.LBB0_228:                              ;   in Loop: Header=BB0_167 Depth=1
	s_or_b64 exec, exec, s[10:11]
.LBB0_229:                              ;   in Loop: Header=BB0_167 Depth=1
	s_or_b64 exec, exec, s[8:9]
	global_load_dwordx2 v[32:33], v29, s[2:3] offset:40
	global_load_dwordx4 v[22:25], v29, s[2:3]
	v_readfirstlane_b32 s8, v6
	v_readfirstlane_b32 s9, v7
	s_mov_b64 s[10:11], exec
	s_waitcnt vmcnt(1)
	v_readfirstlane_b32 s12, v32
	v_readfirstlane_b32 s13, v33
	s_and_b64 s[12:13], s[8:9], s[12:13]
	s_mul_i32 s14, s13, 24
	s_mul_hi_u32 s15, s12, 24
	s_add_i32 s15, s15, s14
	s_mul_i32 s14, s12, 24
	s_waitcnt vmcnt(0)
	v_lshl_add_u64 v[32:33], v[22:23], 0, s[14:15]
	s_and_saveexec_b64 s[14:15], s[0:1]
	s_cbranch_execz .LBB0_231
; %bb.230:                              ;   in Loop: Header=BB0_167 Depth=1
	v_mov_b64_e32 v[6:7], s[10:11]
	global_store_dwordx4 v[32:33], v[6:9], off offset:8
.LBB0_231:                              ;   in Loop: Header=BB0_167 Depth=1
	s_or_b64 exec, exec, s[14:15]
	s_lshl_b64 s[10:11], s[12:13], 12
	v_lshl_add_u64 v[6:7], v[24:25], 0, s[10:11]
	v_or_b32_e32 v24, 2, v2
	v_cmp_lt_u64_e32 vcc, 56, v[26:27]
	v_readfirstlane_b32 s10, v6
	v_readfirstlane_b32 s11, v7
	v_cndmask_b32_e32 v2, v24, v2, vcc
	v_lshl_add_u32 v24, v30, 2, 28
	v_and_b32_e32 v24, 0x1e0, v24
	v_and_or_b32 v2, v2, s17, v24
	s_nop 0
	global_store_dwordx4 v28, v[2:5], s[10:11]
	global_store_dwordx4 v28, v[10:13], s[10:11] offset:16
	global_store_dwordx4 v28, v[14:17], s[10:11] offset:32
	;; [unrolled: 1-line block ×3, first 2 shown]
	s_and_saveexec_b64 s[10:11], s[0:1]
	s_cbranch_execz .LBB0_239
; %bb.232:                              ;   in Loop: Header=BB0_167 Depth=1
	global_load_dwordx2 v[14:15], v29, s[2:3] offset:32 sc0 sc1
	global_load_dwordx2 v[2:3], v29, s[2:3] offset:40
	v_mov_b32_e32 v12, s8
	v_mov_b32_e32 v13, s9
	s_waitcnt vmcnt(0)
	v_readfirstlane_b32 s12, v2
	v_readfirstlane_b32 s13, v3
	s_and_b64 s[12:13], s[12:13], s[8:9]
	s_mul_i32 s13, s13, 24
	s_mul_hi_u32 s14, s12, 24
	s_mul_i32 s12, s12, 24
	s_add_i32 s13, s14, s13
	v_lshl_add_u64 v[10:11], v[22:23], 0, s[12:13]
	global_store_dwordx2 v[10:11], v[14:15], off
	buffer_wbl2 sc0 sc1
	s_waitcnt vmcnt(0)
	global_atomic_cmpswap_x2 v[4:5], v29, v[12:15], s[2:3] offset:32 sc0 sc1
	s_waitcnt vmcnt(0)
	v_cmp_ne_u64_e32 vcc, v[4:5], v[14:15]
	s_and_saveexec_b64 s[12:13], vcc
	s_cbranch_execz .LBB0_235
; %bb.233:                              ;   in Loop: Header=BB0_167 Depth=1
	s_mov_b64 s[14:15], 0
.LBB0_234:                              ;   Parent Loop BB0_167 Depth=1
                                        ; =>  This Inner Loop Header: Depth=2
	s_sleep 1
	global_store_dwordx2 v[10:11], v[4:5], off
	v_mov_b32_e32 v2, s8
	v_mov_b32_e32 v3, s9
	buffer_wbl2 sc0 sc1
	s_waitcnt vmcnt(0)
	global_atomic_cmpswap_x2 v[2:3], v29, v[2:5], s[2:3] offset:32 sc0 sc1
	s_waitcnt vmcnt(0)
	v_cmp_eq_u64_e32 vcc, v[2:3], v[4:5]
	s_or_b64 s[14:15], vcc, s[14:15]
	v_mov_b64_e32 v[4:5], v[2:3]
	s_andn2_b64 exec, exec, s[14:15]
	s_cbranch_execnz .LBB0_234
.LBB0_235:                              ;   in Loop: Header=BB0_167 Depth=1
	s_or_b64 exec, exec, s[12:13]
	global_load_dwordx2 v[2:3], v29, s[2:3] offset:16
	s_mov_b64 s[14:15], exec
	v_mbcnt_lo_u32_b32 v4, s14, 0
	v_mbcnt_hi_u32_b32 v4, s15, v4
	v_cmp_eq_u32_e32 vcc, 0, v4
	s_and_saveexec_b64 s[12:13], vcc
	s_cbranch_execz .LBB0_237
; %bb.236:                              ;   in Loop: Header=BB0_167 Depth=1
	s_bcnt1_i32_b64 s14, s[14:15]
	v_mov_b32_e32 v4, s14
	v_mov_b32_e32 v5, v29
	buffer_wbl2 sc0 sc1
	s_waitcnt vmcnt(0)
	global_atomic_add_x2 v[2:3], v[4:5], off offset:8 sc1
.LBB0_237:                              ;   in Loop: Header=BB0_167 Depth=1
	s_or_b64 exec, exec, s[12:13]
	s_waitcnt vmcnt(0)
	global_load_dwordx2 v[4:5], v[2:3], off offset:16
	s_waitcnt vmcnt(0)
	v_cmp_eq_u64_e32 vcc, 0, v[4:5]
	s_cbranch_vccnz .LBB0_239
; %bb.238:                              ;   in Loop: Header=BB0_167 Depth=1
	global_load_dword v2, v[2:3], off offset:24
	v_mov_b32_e32 v3, v29
	buffer_wbl2 sc0 sc1
	s_waitcnt vmcnt(0)
	global_store_dwordx2 v[4:5], v[2:3], off sc0 sc1
	v_and_b32_e32 v2, 0xffffff, v2
	s_nop 0
	v_readfirstlane_b32 m0, v2
	s_sendmsg sendmsg(MSG_INTERRUPT)
.LBB0_239:                              ;   in Loop: Header=BB0_167 Depth=1
	s_or_b64 exec, exec, s[10:11]
	v_lshl_add_u64 v[2:3], v[6:7], 0, v[28:29]
	s_branch .LBB0_243
.LBB0_240:                              ;   in Loop: Header=BB0_243 Depth=2
	s_or_b64 exec, exec, s[10:11]
	v_readfirstlane_b32 s10, v4
	s_cmp_eq_u32 s10, 0
	s_cbranch_scc1 .LBB0_242
; %bb.241:                              ;   in Loop: Header=BB0_243 Depth=2
	s_sleep 1
	s_cbranch_execnz .LBB0_243
	s_branch .LBB0_245
.LBB0_242:                              ;   in Loop: Header=BB0_167 Depth=1
	s_branch .LBB0_245
.LBB0_243:                              ;   Parent Loop BB0_167 Depth=1
                                        ; =>  This Inner Loop Header: Depth=2
	v_mov_b32_e32 v4, 1
	s_and_saveexec_b64 s[10:11], s[0:1]
	s_cbranch_execz .LBB0_240
; %bb.244:                              ;   in Loop: Header=BB0_243 Depth=2
	global_load_dword v4, v[32:33], off offset:20 sc0 sc1
	s_waitcnt vmcnt(0)
	buffer_inv sc0 sc1
	v_and_b32_e32 v4, 1, v4
	s_branch .LBB0_240
.LBB0_245:                              ;   in Loop: Header=BB0_167 Depth=1
	global_load_dwordx4 v[2:5], v[2:3], off
	s_and_saveexec_b64 s[10:11], s[0:1]
	s_cbranch_execz .LBB0_166
; %bb.246:                              ;   in Loop: Header=BB0_167 Depth=1
	global_load_dwordx2 v[10:11], v29, s[2:3] offset:40
	global_load_dwordx2 v[12:13], v29, s[2:3] offset:24 sc0 sc1
	global_load_dwordx2 v[14:15], v29, s[2:3]
	s_waitcnt vmcnt(2)
	v_lshl_add_u64 v[4:5], v[10:11], 0, 1
	v_lshl_add_u64 v[16:17], v[4:5], 0, s[8:9]
	v_cmp_eq_u64_e32 vcc, 0, v[16:17]
	s_waitcnt vmcnt(1)
	v_mov_b32_e32 v6, v12
	v_cndmask_b32_e32 v5, v17, v5, vcc
	v_cndmask_b32_e32 v4, v16, v4, vcc
	v_and_b32_e32 v7, v5, v11
	v_and_b32_e32 v10, v4, v10
	v_mul_lo_u32 v7, v7, 24
	v_mul_hi_u32 v11, v10, 24
	v_mul_lo_u32 v10, v10, 24
	v_add_u32_e32 v11, v11, v7
	s_waitcnt vmcnt(0)
	v_lshl_add_u64 v[10:11], v[14:15], 0, v[10:11]
	global_store_dwordx2 v[10:11], v[12:13], off
	v_mov_b32_e32 v7, v13
	buffer_wbl2 sc0 sc1
	s_waitcnt vmcnt(0)
	global_atomic_cmpswap_x2 v[6:7], v29, v[4:7], s[2:3] offset:24 sc0 sc1
	s_waitcnt vmcnt(0)
	v_cmp_ne_u64_e32 vcc, v[6:7], v[12:13]
	s_and_b64 exec, exec, vcc
	s_cbranch_execz .LBB0_166
; %bb.247:                              ;   in Loop: Header=BB0_167 Depth=1
	s_mov_b64 s[0:1], 0
.LBB0_248:                              ;   Parent Loop BB0_167 Depth=1
                                        ; =>  This Inner Loop Header: Depth=2
	s_sleep 1
	global_store_dwordx2 v[10:11], v[6:7], off
	buffer_wbl2 sc0 sc1
	s_waitcnt vmcnt(0)
	global_atomic_cmpswap_x2 v[12:13], v29, v[4:7], s[2:3] offset:24 sc0 sc1
	s_waitcnt vmcnt(0)
	v_cmp_eq_u64_e32 vcc, v[12:13], v[6:7]
	s_or_b64 s[0:1], vcc, s[0:1]
	v_mov_b64_e32 v[6:7], v[12:13]
	s_andn2_b64 exec, exec, s[0:1]
	s_cbranch_execnz .LBB0_248
	s_branch .LBB0_166
.LBB0_249:
	s_and_saveexec_b64 s[8:9], s[0:1]
	s_cbranch_execz .LBB0_252
; %bb.250:
	v_mov_b32_e32 v6, 0
	global_load_dwordx2 v[4:5], v6, s[2:3] offset:40
	global_load_dwordx2 v[8:9], v6, s[2:3] offset:24 sc0 sc1
	global_load_dwordx2 v[10:11], v6, s[2:3]
	s_mov_b64 s[0:1], 0
	s_waitcnt vmcnt(2)
	v_lshl_add_u64 v[0:1], v[4:5], 0, 1
	v_lshl_add_u64 v[12:13], v[0:1], 0, s[6:7]
	v_cmp_eq_u64_e32 vcc, 0, v[12:13]
	s_waitcnt vmcnt(1)
	v_mov_b32_e32 v2, v8
	v_cndmask_b32_e32 v1, v13, v1, vcc
	v_cndmask_b32_e32 v0, v12, v0, vcc
	v_and_b32_e32 v3, v1, v5
	v_and_b32_e32 v4, v0, v4
	v_mul_lo_u32 v3, v3, 24
	v_mul_hi_u32 v5, v4, 24
	v_mul_lo_u32 v4, v4, 24
	v_add_u32_e32 v5, v5, v3
	s_waitcnt vmcnt(0)
	v_lshl_add_u64 v[4:5], v[10:11], 0, v[4:5]
	global_store_dwordx2 v[4:5], v[8:9], off
	v_mov_b32_e32 v3, v9
	buffer_wbl2 sc0 sc1
	s_waitcnt vmcnt(0)
	global_atomic_cmpswap_x2 v[2:3], v6, v[0:3], s[2:3] offset:24 sc0 sc1
	s_waitcnt vmcnt(0)
	v_cmp_ne_u64_e32 vcc, v[2:3], v[8:9]
	s_and_b64 exec, exec, vcc
	s_cbranch_execz .LBB0_252
.LBB0_251:                              ; =>This Inner Loop Header: Depth=1
	s_sleep 1
	global_store_dwordx2 v[4:5], v[2:3], off
	buffer_wbl2 sc0 sc1
	s_waitcnt vmcnt(0)
	global_atomic_cmpswap_x2 v[8:9], v6, v[0:3], s[2:3] offset:24 sc0 sc1
	s_waitcnt vmcnt(0)
	v_cmp_eq_u64_e32 vcc, v[8:9], v[2:3]
	s_or_b64 s[0:1], vcc, s[0:1]
	v_mov_b64_e32 v[2:3], v[8:9]
	s_andn2_b64 exec, exec, s[0:1]
	s_cbranch_execnz .LBB0_251
.LBB0_252:
	s_or_b64 exec, exec, s[8:9]
	s_or_b64 exec, exec, s[4:5]
	s_waitcnt vmcnt(0) lgkmcnt(0)
	s_setpc_b64 s[30:31]
.LBB0_253:
	s_or_b64 exec, exec, s[6:7]
                                        ; implicit-def: $vgpr2_vgpr3
                                        ; implicit-def: $vgpr28
                                        ; implicit-def: $vgpr36
	s_andn2_saveexec_b64 s[4:5], s[4:5]
	s_cbranch_execnz .LBB0_140
.LBB0_254:
	s_or_b64 exec, exec, s[4:5]
	s_waitcnt vmcnt(0) lgkmcnt(0)
	s_setpc_b64 s[30:31]
.Lfunc_end0:
	.size	_ZNK8migraphx13basic_printerIZNS_4coutEvEUlT_E_ElsEPKc, .Lfunc_end0-_ZNK8migraphx13basic_printerIZNS_4coutEvEUlT_E_ElsEPKc
                                        ; -- End function
	.section	.AMDGPU.csdata,"",@progbits
; Function info:
; codeLenInByte = 8852
; NumSgprs: 38
; NumVgprs: 37
; NumAgprs: 0
; TotalNumVgprs: 37
; ScratchSize: 0
; MemoryBound: 0
	.text
	.p2align	2                               ; -- Begin function _ZN8migraphx4testlsIKNS_13basic_printerIZNS_4coutEvEUlT_E_EEEERS3_S7_RKNS0_14lhs_expressionIbNS0_3nopEEE
	.type	_ZN8migraphx4testlsIKNS_13basic_printerIZNS_4coutEvEUlT_E_EEEERS3_S7_RKNS0_14lhs_expressionIbNS0_3nopEEE,@function
_ZN8migraphx4testlsIKNS_13basic_printerIZNS_4coutEvEUlT_E_EEEERS3_S7_RKNS0_14lhs_expressionIbNS0_3nopEEE: ; @_ZN8migraphx4testlsIKNS_13basic_printerIZNS_4coutEvEUlT_E_EEEERS3_S7_RKNS0_14lhs_expressionIbNS0_3nopEEE
; %bb.0:
	s_waitcnt vmcnt(0) expcnt(0) lgkmcnt(0)
	s_load_dwordx2 s[2:3], s[8:9], 0x50
	v_and_b32_e32 v0, 1, v0
	v_cmp_eq_u32_e32 vcc, 1, v0
	v_mbcnt_lo_u32_b32 v0, -1, 0
	s_xor_b64 s[0:1], vcc, -1
	v_mbcnt_hi_u32_b32 v32, -1, v0
	s_and_saveexec_b64 s[4:5], s[0:1]
	s_xor_b64 s[4:5], exec, s[4:5]
	s_cbranch_execz .LBB1_111
; %bb.1:
	v_readfirstlane_b32 s0, v32
	v_mov_b64_e32 v[4:5], 0
	s_nop 0
	v_cmp_eq_u32_e64 s[0:1], s0, v32
	s_and_saveexec_b64 s[6:7], s[0:1]
	s_cbranch_execz .LBB1_7
; %bb.2:
	v_mov_b32_e32 v0, 0
	s_waitcnt lgkmcnt(0)
	global_load_dwordx2 v[6:7], v0, s[2:3] offset:24 sc0 sc1
	s_waitcnt vmcnt(0)
	buffer_inv sc0 sc1
	global_load_dwordx2 v[2:3], v0, s[2:3] offset:40
	global_load_dwordx2 v[4:5], v0, s[2:3]
	s_waitcnt vmcnt(1)
	v_and_b32_e32 v1, v2, v6
	v_and_b32_e32 v2, v3, v7
	v_mul_lo_u32 v2, v2, 24
	v_mul_hi_u32 v3, v1, 24
	v_add_u32_e32 v3, v3, v2
	v_mul_lo_u32 v2, v1, 24
	s_waitcnt vmcnt(0)
	v_lshl_add_u64 v[2:3], v[4:5], 0, v[2:3]
	global_load_dwordx2 v[4:5], v[2:3], off sc0 sc1
	s_waitcnt vmcnt(0)
	global_atomic_cmpswap_x2 v[4:5], v0, v[4:7], s[2:3] offset:24 sc0 sc1
	s_waitcnt vmcnt(0)
	buffer_inv sc0 sc1
	v_cmp_ne_u64_e32 vcc, v[4:5], v[6:7]
	s_and_saveexec_b64 s[8:9], vcc
	s_cbranch_execz .LBB1_6
; %bb.3:
	s_mov_b64 s[10:11], 0
.LBB1_4:                                ; =>This Inner Loop Header: Depth=1
	s_sleep 1
	global_load_dwordx2 v[2:3], v0, s[2:3] offset:40
	global_load_dwordx2 v[8:9], v0, s[2:3]
	v_mov_b64_e32 v[6:7], v[4:5]
	s_waitcnt vmcnt(1)
	v_and_b32_e32 v2, v2, v6
	v_and_b32_e32 v1, v3, v7
	s_waitcnt vmcnt(0)
	v_mad_u64_u32 v[2:3], s[12:13], v2, 24, v[8:9]
	v_mov_b32_e32 v4, v3
	v_mad_u64_u32 v[4:5], s[12:13], v1, 24, v[4:5]
	v_mov_b32_e32 v3, v4
	global_load_dwordx2 v[4:5], v[2:3], off sc0 sc1
	s_waitcnt vmcnt(0)
	global_atomic_cmpswap_x2 v[4:5], v0, v[4:7], s[2:3] offset:24 sc0 sc1
	s_waitcnt vmcnt(0)
	buffer_inv sc0 sc1
	v_cmp_eq_u64_e32 vcc, v[4:5], v[6:7]
	s_or_b64 s[10:11], vcc, s[10:11]
	s_andn2_b64 exec, exec, s[10:11]
	s_cbranch_execnz .LBB1_4
; %bb.5:
	s_or_b64 exec, exec, s[10:11]
.LBB1_6:
	s_or_b64 exec, exec, s[8:9]
.LBB1_7:
	s_or_b64 exec, exec, s[6:7]
	v_mov_b32_e32 v27, 0
	s_waitcnt lgkmcnt(0)
	global_load_dwordx2 v[6:7], v27, s[2:3] offset:40
	global_load_dwordx4 v[0:3], v27, s[2:3]
	v_readfirstlane_b32 s6, v4
	v_readfirstlane_b32 s7, v5
	s_mov_b64 s[8:9], exec
	s_waitcnt vmcnt(1)
	v_readfirstlane_b32 s10, v6
	v_readfirstlane_b32 s11, v7
	s_and_b64 s[10:11], s[6:7], s[10:11]
	s_mul_i32 s12, s11, 24
	s_mul_hi_u32 s13, s10, 24
	s_add_i32 s13, s13, s12
	s_mul_i32 s12, s10, 24
	s_waitcnt vmcnt(0)
	v_lshl_add_u64 v[4:5], v[0:1], 0, s[12:13]
	s_and_saveexec_b64 s[12:13], s[0:1]
	s_cbranch_execz .LBB1_9
; %bb.8:
	v_mov_b64_e32 v[6:7], s[8:9]
	v_mov_b32_e32 v8, 2
	v_mov_b32_e32 v9, 1
	global_store_dwordx4 v[4:5], v[6:9], off offset:8
.LBB1_9:
	s_or_b64 exec, exec, s[12:13]
	s_lshl_b64 s[8:9], s[10:11], 12
	v_lshl_add_u64 v[6:7], v[2:3], 0, s[8:9]
	s_mov_b32 s8, 0
	v_lshlrev_b32_e32 v26, 6, v32
	v_mov_b32_e32 v8, 33
	v_mov_b32_e32 v9, v27
	;; [unrolled: 1-line block ×4, first 2 shown]
	v_readfirstlane_b32 s12, v6
	v_readfirstlane_b32 s13, v7
	s_mov_b32 s9, s8
	s_mov_b32 s10, s8
	;; [unrolled: 1-line block ×3, first 2 shown]
	s_nop 1
	global_store_dwordx4 v26, v[8:11], s[12:13]
	s_nop 1
	v_mov_b64_e32 v[8:9], s[8:9]
	v_mov_b64_e32 v[10:11], s[10:11]
	global_store_dwordx4 v26, v[8:11], s[12:13] offset:16
	global_store_dwordx4 v26, v[8:11], s[12:13] offset:32
	;; [unrolled: 1-line block ×3, first 2 shown]
	s_and_saveexec_b64 s[8:9], s[0:1]
	s_cbranch_execz .LBB1_17
; %bb.10:
	v_mov_b32_e32 v10, 0
	global_load_dwordx2 v[14:15], v10, s[2:3] offset:32 sc0 sc1
	global_load_dwordx2 v[2:3], v10, s[2:3] offset:40
	v_mov_b32_e32 v12, s6
	v_mov_b32_e32 v13, s7
	s_waitcnt vmcnt(0)
	v_and_b32_e32 v2, s6, v2
	v_and_b32_e32 v3, s7, v3
	v_mul_lo_u32 v3, v3, 24
	v_mul_hi_u32 v8, v2, 24
	v_mul_lo_u32 v2, v2, 24
	v_add_u32_e32 v3, v8, v3
	v_lshl_add_u64 v[8:9], v[0:1], 0, v[2:3]
	global_store_dwordx2 v[8:9], v[14:15], off
	buffer_wbl2 sc0 sc1
	s_waitcnt vmcnt(0)
	global_atomic_cmpswap_x2 v[2:3], v10, v[12:15], s[2:3] offset:32 sc0 sc1
	s_waitcnt vmcnt(0)
	v_cmp_ne_u64_e32 vcc, v[2:3], v[14:15]
	s_and_saveexec_b64 s[10:11], vcc
	s_cbranch_execz .LBB1_13
; %bb.11:
	s_mov_b64 s[12:13], 0
.LBB1_12:                               ; =>This Inner Loop Header: Depth=1
	s_sleep 1
	global_store_dwordx2 v[8:9], v[2:3], off
	v_mov_b32_e32 v0, s6
	v_mov_b32_e32 v1, s7
	buffer_wbl2 sc0 sc1
	s_waitcnt vmcnt(0)
	global_atomic_cmpswap_x2 v[0:1], v10, v[0:3], s[2:3] offset:32 sc0 sc1
	s_waitcnt vmcnt(0)
	v_cmp_eq_u64_e32 vcc, v[0:1], v[2:3]
	s_or_b64 s[12:13], vcc, s[12:13]
	v_mov_b64_e32 v[2:3], v[0:1]
	s_andn2_b64 exec, exec, s[12:13]
	s_cbranch_execnz .LBB1_12
.LBB1_13:
	s_or_b64 exec, exec, s[10:11]
	v_mov_b32_e32 v3, 0
	global_load_dwordx2 v[0:1], v3, s[2:3] offset:16
	s_mov_b64 s[10:11], exec
	v_mbcnt_lo_u32_b32 v2, s10, 0
	v_mbcnt_hi_u32_b32 v2, s11, v2
	v_cmp_eq_u32_e32 vcc, 0, v2
	s_and_saveexec_b64 s[12:13], vcc
	s_cbranch_execz .LBB1_15
; %bb.14:
	s_bcnt1_i32_b64 s10, s[10:11]
	v_mov_b32_e32 v2, s10
	buffer_wbl2 sc0 sc1
	s_waitcnt vmcnt(0)
	global_atomic_add_x2 v[0:1], v[2:3], off offset:8 sc1
.LBB1_15:
	s_or_b64 exec, exec, s[12:13]
	s_waitcnt vmcnt(0)
	global_load_dwordx2 v[2:3], v[0:1], off offset:16
	s_waitcnt vmcnt(0)
	v_cmp_eq_u64_e32 vcc, 0, v[2:3]
	s_cbranch_vccnz .LBB1_17
; %bb.16:
	global_load_dword v0, v[0:1], off offset:24
	v_mov_b32_e32 v1, 0
	buffer_wbl2 sc0 sc1
	s_waitcnt vmcnt(0)
	global_store_dwordx2 v[2:3], v[0:1], off sc0 sc1
	v_and_b32_e32 v0, 0xffffff, v0
	s_nop 0
	v_readfirstlane_b32 m0, v0
	s_sendmsg sendmsg(MSG_INTERRUPT)
.LBB1_17:
	s_or_b64 exec, exec, s[8:9]
	v_lshl_add_u64 v[0:1], v[6:7], 0, v[26:27]
	s_branch .LBB1_21
.LBB1_18:                               ;   in Loop: Header=BB1_21 Depth=1
	s_or_b64 exec, exec, s[8:9]
	v_readfirstlane_b32 s8, v2
	s_cmp_eq_u32 s8, 0
	s_cbranch_scc1 .LBB1_20
; %bb.19:                               ;   in Loop: Header=BB1_21 Depth=1
	s_sleep 1
	s_cbranch_execnz .LBB1_21
	s_branch .LBB1_23
.LBB1_20:
	s_branch .LBB1_23
.LBB1_21:                               ; =>This Inner Loop Header: Depth=1
	v_mov_b32_e32 v2, 1
	s_and_saveexec_b64 s[8:9], s[0:1]
	s_cbranch_execz .LBB1_18
; %bb.22:                               ;   in Loop: Header=BB1_21 Depth=1
	global_load_dword v2, v[4:5], off offset:20 sc0 sc1
	s_waitcnt vmcnt(0)
	buffer_inv sc0 sc1
	v_and_b32_e32 v2, 1, v2
	s_branch .LBB1_18
.LBB1_23:
	global_load_dwordx2 v[0:1], v[0:1], off
	s_and_saveexec_b64 s[8:9], s[0:1]
	s_cbranch_execz .LBB1_26
; %bb.24:
	v_mov_b32_e32 v8, 0
	global_load_dwordx2 v[6:7], v8, s[2:3] offset:40
	global_load_dwordx2 v[10:11], v8, s[2:3] offset:24 sc0 sc1
	global_load_dwordx2 v[12:13], v8, s[2:3]
	s_mov_b64 s[0:1], 0
	s_waitcnt vmcnt(2)
	v_lshl_add_u64 v[2:3], v[6:7], 0, 1
	v_lshl_add_u64 v[14:15], v[2:3], 0, s[6:7]
	v_cmp_eq_u64_e32 vcc, 0, v[14:15]
	s_waitcnt vmcnt(1)
	v_mov_b32_e32 v4, v10
	v_cndmask_b32_e32 v3, v15, v3, vcc
	v_cndmask_b32_e32 v2, v14, v2, vcc
	v_and_b32_e32 v5, v3, v7
	v_and_b32_e32 v6, v2, v6
	v_mul_lo_u32 v5, v5, 24
	v_mul_hi_u32 v7, v6, 24
	v_mul_lo_u32 v6, v6, 24
	v_add_u32_e32 v7, v7, v5
	s_waitcnt vmcnt(0)
	v_lshl_add_u64 v[6:7], v[12:13], 0, v[6:7]
	global_store_dwordx2 v[6:7], v[10:11], off
	v_mov_b32_e32 v5, v11
	buffer_wbl2 sc0 sc1
	s_waitcnt vmcnt(0)
	global_atomic_cmpswap_x2 v[4:5], v8, v[2:5], s[2:3] offset:24 sc0 sc1
	s_waitcnt vmcnt(0)
	v_cmp_ne_u64_e32 vcc, v[4:5], v[10:11]
	s_and_b64 exec, exec, vcc
	s_cbranch_execz .LBB1_26
.LBB1_25:                               ; =>This Inner Loop Header: Depth=1
	s_sleep 1
	global_store_dwordx2 v[6:7], v[4:5], off
	buffer_wbl2 sc0 sc1
	s_waitcnt vmcnt(0)
	global_atomic_cmpswap_x2 v[10:11], v8, v[2:5], s[2:3] offset:24 sc0 sc1
	s_waitcnt vmcnt(0)
	v_cmp_eq_u64_e32 vcc, v[10:11], v[4:5]
	s_or_b64 s[0:1], vcc, s[0:1]
	v_mov_b64_e32 v[4:5], v[10:11]
	s_andn2_b64 exec, exec, s[0:1]
	s_cbranch_execnz .LBB1_25
.LBB1_26:
	s_or_b64 exec, exec, s[8:9]
	s_getpc_b64 s[6:7]
	s_add_u32 s6, s6, .str.11@rel32@lo+4
	s_addc_u32 s7, s7, .str.11@rel32@hi+12
	s_cmp_lg_u64 s[6:7], 0
	s_cbranch_scc0 .LBB1_222
; %bb.27:
	s_waitcnt vmcnt(0)
	v_and_b32_e32 v6, -3, v0
	v_mov_b32_e32 v7, v1
	s_mov_b64 s[8:9], 6
	v_mov_b32_e32 v29, 0
	v_mov_b32_e32 v4, 2
	;; [unrolled: 1-line block ×3, first 2 shown]
	s_branch .LBB1_29
.LBB1_28:                               ;   in Loop: Header=BB1_29 Depth=1
	s_or_b64 exec, exec, s[14:15]
	s_sub_u32 s8, s8, s10
	s_subb_u32 s9, s9, s11
	s_add_u32 s6, s6, s10
	s_addc_u32 s7, s7, s11
	s_cmp_lg_u64 s[8:9], 0
	s_cbranch_scc0 .LBB1_110
.LBB1_29:                               ; =>This Loop Header: Depth=1
                                        ;     Child Loop BB1_32 Depth 2
                                        ;     Child Loop BB1_39 Depth 2
	;; [unrolled: 1-line block ×11, first 2 shown]
	v_cmp_lt_u64_e64 s[0:1], s[8:9], 56
	s_and_b64 s[0:1], s[0:1], exec
	v_cmp_gt_u64_e64 s[0:1], s[8:9], 7
	s_cselect_b32 s11, s9, 0
	s_cselect_b32 s10, s8, 56
	s_and_b64 vcc, exec, s[0:1]
	s_cbranch_vccnz .LBB1_34
; %bb.30:                               ;   in Loop: Header=BB1_29 Depth=1
	s_mov_b64 s[0:1], 0
	s_cmp_eq_u64 s[8:9], 0
	s_waitcnt vmcnt(0)
	v_mov_b64_e32 v[8:9], 0
	s_cbranch_scc1 .LBB1_33
; %bb.31:                               ;   in Loop: Header=BB1_29 Depth=1
	s_lshl_b64 s[12:13], s[10:11], 3
	s_mov_b64 s[14:15], 0
	v_mov_b64_e32 v[8:9], 0
	s_mov_b64 s[16:17], s[6:7]
.LBB1_32:                               ;   Parent Loop BB1_29 Depth=1
                                        ; =>  This Inner Loop Header: Depth=2
	global_load_ubyte v2, v29, s[16:17]
	s_waitcnt vmcnt(0)
	v_and_b32_e32 v28, 0xffff, v2
	v_lshlrev_b64 v[2:3], s14, v[28:29]
	s_add_u32 s14, s14, 8
	s_addc_u32 s15, s15, 0
	s_add_u32 s16, s16, 1
	s_addc_u32 s17, s17, 0
	v_or_b32_e32 v8, v2, v8
	s_cmp_lg_u32 s12, s14
	v_or_b32_e32 v9, v3, v9
	s_cbranch_scc1 .LBB1_32
.LBB1_33:                               ;   in Loop: Header=BB1_29 Depth=1
	s_mov_b32 s16, 0
	s_andn2_b64 vcc, exec, s[0:1]
	s_mov_b64 s[0:1], s[6:7]
	s_cbranch_vccz .LBB1_35
	s_branch .LBB1_36
.LBB1_34:                               ;   in Loop: Header=BB1_29 Depth=1
                                        ; implicit-def: $sgpr16
	s_mov_b64 s[0:1], s[6:7]
.LBB1_35:                               ;   in Loop: Header=BB1_29 Depth=1
	global_load_dwordx2 v[8:9], v29, s[6:7]
	s_add_i32 s16, s10, -8
	s_add_u32 s0, s6, 8
	s_addc_u32 s1, s7, 0
.LBB1_36:                               ;   in Loop: Header=BB1_29 Depth=1
	s_cmp_gt_u32 s16, 7
	s_cbranch_scc1 .LBB1_40
; %bb.37:                               ;   in Loop: Header=BB1_29 Depth=1
	s_cmp_eq_u32 s16, 0
	s_cbranch_scc1 .LBB1_41
; %bb.38:                               ;   in Loop: Header=BB1_29 Depth=1
	s_mov_b64 s[12:13], 0
	v_mov_b64_e32 v[10:11], 0
	s_mov_b64 s[14:15], 0
.LBB1_39:                               ;   Parent Loop BB1_29 Depth=1
                                        ; =>  This Inner Loop Header: Depth=2
	s_add_u32 s18, s0, s14
	s_addc_u32 s19, s1, s15
	global_load_ubyte v2, v29, s[18:19]
	s_add_u32 s14, s14, 1
	s_addc_u32 s15, s15, 0
	s_waitcnt vmcnt(0)
	v_and_b32_e32 v28, 0xffff, v2
	v_lshlrev_b64 v[2:3], s12, v[28:29]
	s_add_u32 s12, s12, 8
	s_addc_u32 s13, s13, 0
	v_or_b32_e32 v10, v2, v10
	s_cmp_lg_u32 s16, s14
	v_or_b32_e32 v11, v3, v11
	s_cbranch_scc1 .LBB1_39
	s_branch .LBB1_42
.LBB1_40:                               ;   in Loop: Header=BB1_29 Depth=1
                                        ; implicit-def: $vgpr10_vgpr11
                                        ; implicit-def: $sgpr17
	s_branch .LBB1_43
.LBB1_41:                               ;   in Loop: Header=BB1_29 Depth=1
	v_mov_b64_e32 v[10:11], 0
.LBB1_42:                               ;   in Loop: Header=BB1_29 Depth=1
	s_mov_b32 s17, 0
	s_cbranch_execnz .LBB1_44
.LBB1_43:                               ;   in Loop: Header=BB1_29 Depth=1
	global_load_dwordx2 v[10:11], v29, s[0:1]
	s_add_i32 s17, s16, -8
	s_add_u32 s0, s0, 8
	s_addc_u32 s1, s1, 0
.LBB1_44:                               ;   in Loop: Header=BB1_29 Depth=1
	s_cmp_gt_u32 s17, 7
	s_cbranch_scc1 .LBB1_48
; %bb.45:                               ;   in Loop: Header=BB1_29 Depth=1
	s_cmp_eq_u32 s17, 0
	s_cbranch_scc1 .LBB1_49
; %bb.46:                               ;   in Loop: Header=BB1_29 Depth=1
	s_mov_b64 s[12:13], 0
	v_mov_b64_e32 v[12:13], 0
	s_mov_b64 s[14:15], 0
.LBB1_47:                               ;   Parent Loop BB1_29 Depth=1
                                        ; =>  This Inner Loop Header: Depth=2
	s_add_u32 s18, s0, s14
	s_addc_u32 s19, s1, s15
	global_load_ubyte v2, v29, s[18:19]
	s_add_u32 s14, s14, 1
	s_addc_u32 s15, s15, 0
	s_waitcnt vmcnt(0)
	v_and_b32_e32 v28, 0xffff, v2
	v_lshlrev_b64 v[2:3], s12, v[28:29]
	s_add_u32 s12, s12, 8
	s_addc_u32 s13, s13, 0
	v_or_b32_e32 v12, v2, v12
	s_cmp_lg_u32 s17, s14
	v_or_b32_e32 v13, v3, v13
	s_cbranch_scc1 .LBB1_47
	s_branch .LBB1_50
.LBB1_48:                               ;   in Loop: Header=BB1_29 Depth=1
                                        ; implicit-def: $sgpr16
	s_branch .LBB1_51
.LBB1_49:                               ;   in Loop: Header=BB1_29 Depth=1
	v_mov_b64_e32 v[12:13], 0
.LBB1_50:                               ;   in Loop: Header=BB1_29 Depth=1
	s_mov_b32 s16, 0
	s_cbranch_execnz .LBB1_52
.LBB1_51:                               ;   in Loop: Header=BB1_29 Depth=1
	global_load_dwordx2 v[12:13], v29, s[0:1]
	s_add_i32 s16, s17, -8
	s_add_u32 s0, s0, 8
	s_addc_u32 s1, s1, 0
.LBB1_52:                               ;   in Loop: Header=BB1_29 Depth=1
	s_cmp_gt_u32 s16, 7
	s_cbranch_scc1 .LBB1_56
; %bb.53:                               ;   in Loop: Header=BB1_29 Depth=1
	s_cmp_eq_u32 s16, 0
	s_cbranch_scc1 .LBB1_57
; %bb.54:                               ;   in Loop: Header=BB1_29 Depth=1
	s_mov_b64 s[12:13], 0
	v_mov_b64_e32 v[14:15], 0
	s_mov_b64 s[14:15], 0
.LBB1_55:                               ;   Parent Loop BB1_29 Depth=1
                                        ; =>  This Inner Loop Header: Depth=2
	s_add_u32 s18, s0, s14
	s_addc_u32 s19, s1, s15
	global_load_ubyte v2, v29, s[18:19]
	s_add_u32 s14, s14, 1
	s_addc_u32 s15, s15, 0
	s_waitcnt vmcnt(0)
	v_and_b32_e32 v28, 0xffff, v2
	v_lshlrev_b64 v[2:3], s12, v[28:29]
	s_add_u32 s12, s12, 8
	s_addc_u32 s13, s13, 0
	v_or_b32_e32 v14, v2, v14
	s_cmp_lg_u32 s16, s14
	v_or_b32_e32 v15, v3, v15
	s_cbranch_scc1 .LBB1_55
	s_branch .LBB1_58
.LBB1_56:                               ;   in Loop: Header=BB1_29 Depth=1
                                        ; implicit-def: $vgpr14_vgpr15
                                        ; implicit-def: $sgpr17
	s_branch .LBB1_59
.LBB1_57:                               ;   in Loop: Header=BB1_29 Depth=1
	v_mov_b64_e32 v[14:15], 0
.LBB1_58:                               ;   in Loop: Header=BB1_29 Depth=1
	s_mov_b32 s17, 0
	s_cbranch_execnz .LBB1_60
.LBB1_59:                               ;   in Loop: Header=BB1_29 Depth=1
	global_load_dwordx2 v[14:15], v29, s[0:1]
	s_add_i32 s17, s16, -8
	s_add_u32 s0, s0, 8
	s_addc_u32 s1, s1, 0
.LBB1_60:                               ;   in Loop: Header=BB1_29 Depth=1
	s_cmp_gt_u32 s17, 7
	s_cbranch_scc1 .LBB1_64
; %bb.61:                               ;   in Loop: Header=BB1_29 Depth=1
	s_cmp_eq_u32 s17, 0
	s_cbranch_scc1 .LBB1_65
; %bb.62:                               ;   in Loop: Header=BB1_29 Depth=1
	s_mov_b64 s[12:13], 0
	v_mov_b64_e32 v[16:17], 0
	s_mov_b64 s[14:15], 0
.LBB1_63:                               ;   Parent Loop BB1_29 Depth=1
                                        ; =>  This Inner Loop Header: Depth=2
	s_add_u32 s18, s0, s14
	s_addc_u32 s19, s1, s15
	global_load_ubyte v2, v29, s[18:19]
	s_add_u32 s14, s14, 1
	s_addc_u32 s15, s15, 0
	s_waitcnt vmcnt(0)
	v_and_b32_e32 v28, 0xffff, v2
	v_lshlrev_b64 v[2:3], s12, v[28:29]
	s_add_u32 s12, s12, 8
	s_addc_u32 s13, s13, 0
	v_or_b32_e32 v16, v2, v16
	s_cmp_lg_u32 s17, s14
	v_or_b32_e32 v17, v3, v17
	s_cbranch_scc1 .LBB1_63
	s_branch .LBB1_66
.LBB1_64:                               ;   in Loop: Header=BB1_29 Depth=1
                                        ; implicit-def: $sgpr16
	s_branch .LBB1_67
.LBB1_65:                               ;   in Loop: Header=BB1_29 Depth=1
	v_mov_b64_e32 v[16:17], 0
.LBB1_66:                               ;   in Loop: Header=BB1_29 Depth=1
	s_mov_b32 s16, 0
	s_cbranch_execnz .LBB1_68
.LBB1_67:                               ;   in Loop: Header=BB1_29 Depth=1
	global_load_dwordx2 v[16:17], v29, s[0:1]
	s_add_i32 s16, s17, -8
	s_add_u32 s0, s0, 8
	s_addc_u32 s1, s1, 0
.LBB1_68:                               ;   in Loop: Header=BB1_29 Depth=1
	s_cmp_gt_u32 s16, 7
	s_cbranch_scc1 .LBB1_72
; %bb.69:                               ;   in Loop: Header=BB1_29 Depth=1
	s_cmp_eq_u32 s16, 0
	s_cbranch_scc1 .LBB1_73
; %bb.70:                               ;   in Loop: Header=BB1_29 Depth=1
	s_mov_b64 s[12:13], 0
	v_mov_b64_e32 v[18:19], 0
	s_mov_b64 s[14:15], 0
.LBB1_71:                               ;   Parent Loop BB1_29 Depth=1
                                        ; =>  This Inner Loop Header: Depth=2
	s_add_u32 s18, s0, s14
	s_addc_u32 s19, s1, s15
	global_load_ubyte v2, v29, s[18:19]
	s_add_u32 s14, s14, 1
	s_addc_u32 s15, s15, 0
	s_waitcnt vmcnt(0)
	v_and_b32_e32 v28, 0xffff, v2
	v_lshlrev_b64 v[2:3], s12, v[28:29]
	s_add_u32 s12, s12, 8
	s_addc_u32 s13, s13, 0
	v_or_b32_e32 v18, v2, v18
	s_cmp_lg_u32 s16, s14
	v_or_b32_e32 v19, v3, v19
	s_cbranch_scc1 .LBB1_71
	s_branch .LBB1_74
.LBB1_72:                               ;   in Loop: Header=BB1_29 Depth=1
                                        ; implicit-def: $vgpr18_vgpr19
                                        ; implicit-def: $sgpr17
	s_branch .LBB1_75
.LBB1_73:                               ;   in Loop: Header=BB1_29 Depth=1
	v_mov_b64_e32 v[18:19], 0
.LBB1_74:                               ;   in Loop: Header=BB1_29 Depth=1
	s_mov_b32 s17, 0
	s_cbranch_execnz .LBB1_76
.LBB1_75:                               ;   in Loop: Header=BB1_29 Depth=1
	global_load_dwordx2 v[18:19], v29, s[0:1]
	s_add_i32 s17, s16, -8
	s_add_u32 s0, s0, 8
	s_addc_u32 s1, s1, 0
.LBB1_76:                               ;   in Loop: Header=BB1_29 Depth=1
	s_cmp_gt_u32 s17, 7
	s_cbranch_scc1 .LBB1_80
; %bb.77:                               ;   in Loop: Header=BB1_29 Depth=1
	s_cmp_eq_u32 s17, 0
	s_cbranch_scc1 .LBB1_81
; %bb.78:                               ;   in Loop: Header=BB1_29 Depth=1
	s_mov_b64 s[12:13], 0
	v_mov_b64_e32 v[20:21], 0
	s_mov_b64 s[14:15], s[0:1]
.LBB1_79:                               ;   Parent Loop BB1_29 Depth=1
                                        ; =>  This Inner Loop Header: Depth=2
	global_load_ubyte v2, v29, s[14:15]
	s_add_i32 s17, s17, -1
	s_waitcnt vmcnt(0)
	v_and_b32_e32 v28, 0xffff, v2
	v_lshlrev_b64 v[2:3], s12, v[28:29]
	s_add_u32 s12, s12, 8
	s_addc_u32 s13, s13, 0
	s_add_u32 s14, s14, 1
	s_addc_u32 s15, s15, 0
	v_or_b32_e32 v20, v2, v20
	s_cmp_lg_u32 s17, 0
	v_or_b32_e32 v21, v3, v21
	s_cbranch_scc1 .LBB1_79
	s_branch .LBB1_82
.LBB1_80:                               ;   in Loop: Header=BB1_29 Depth=1
	s_branch .LBB1_83
.LBB1_81:                               ;   in Loop: Header=BB1_29 Depth=1
	v_mov_b64_e32 v[20:21], 0
.LBB1_82:                               ;   in Loop: Header=BB1_29 Depth=1
	s_cbranch_execnz .LBB1_84
.LBB1_83:                               ;   in Loop: Header=BB1_29 Depth=1
	global_load_dwordx2 v[20:21], v29, s[0:1]
.LBB1_84:                               ;   in Loop: Header=BB1_29 Depth=1
	v_readfirstlane_b32 s0, v32
	v_mov_b64_e32 v[2:3], 0
	s_nop 0
	v_cmp_eq_u32_e64 s[0:1], s0, v32
	s_and_saveexec_b64 s[12:13], s[0:1]
	s_cbranch_execz .LBB1_90
; %bb.85:                               ;   in Loop: Header=BB1_29 Depth=1
	global_load_dwordx2 v[24:25], v29, s[2:3] offset:24 sc0 sc1
	s_waitcnt vmcnt(0)
	buffer_inv sc0 sc1
	global_load_dwordx2 v[2:3], v29, s[2:3] offset:40
	global_load_dwordx2 v[22:23], v29, s[2:3]
	s_waitcnt vmcnt(1)
	v_and_b32_e32 v2, v2, v24
	v_and_b32_e32 v3, v3, v25
	v_mul_lo_u32 v3, v3, 24
	v_mul_hi_u32 v27, v2, 24
	v_add_u32_e32 v3, v27, v3
	v_mul_lo_u32 v2, v2, 24
	s_waitcnt vmcnt(0)
	v_lshl_add_u64 v[2:3], v[22:23], 0, v[2:3]
	global_load_dwordx2 v[22:23], v[2:3], off sc0 sc1
	s_waitcnt vmcnt(0)
	global_atomic_cmpswap_x2 v[2:3], v29, v[22:25], s[2:3] offset:24 sc0 sc1
	s_waitcnt vmcnt(0)
	buffer_inv sc0 sc1
	v_cmp_ne_u64_e32 vcc, v[2:3], v[24:25]
	s_and_saveexec_b64 s[14:15], vcc
	s_cbranch_execz .LBB1_89
; %bb.86:                               ;   in Loop: Header=BB1_29 Depth=1
	s_mov_b64 s[16:17], 0
.LBB1_87:                               ;   Parent Loop BB1_29 Depth=1
                                        ; =>  This Inner Loop Header: Depth=2
	s_sleep 1
	global_load_dwordx2 v[22:23], v29, s[2:3] offset:40
	global_load_dwordx2 v[30:31], v29, s[2:3]
	v_mov_b64_e32 v[24:25], v[2:3]
	s_waitcnt vmcnt(1)
	v_and_b32_e32 v2, v22, v24
	s_waitcnt vmcnt(0)
	v_mad_u64_u32 v[2:3], s[18:19], v2, 24, v[30:31]
	v_and_b32_e32 v23, v23, v25
	v_mov_b32_e32 v22, v3
	v_mad_u64_u32 v[22:23], s[18:19], v23, 24, v[22:23]
	v_mov_b32_e32 v3, v22
	global_load_dwordx2 v[22:23], v[2:3], off sc0 sc1
	s_waitcnt vmcnt(0)
	global_atomic_cmpswap_x2 v[2:3], v29, v[22:25], s[2:3] offset:24 sc0 sc1
	s_waitcnt vmcnt(0)
	buffer_inv sc0 sc1
	v_cmp_eq_u64_e32 vcc, v[2:3], v[24:25]
	s_or_b64 s[16:17], vcc, s[16:17]
	s_andn2_b64 exec, exec, s[16:17]
	s_cbranch_execnz .LBB1_87
; %bb.88:                               ;   in Loop: Header=BB1_29 Depth=1
	s_or_b64 exec, exec, s[16:17]
.LBB1_89:                               ;   in Loop: Header=BB1_29 Depth=1
	s_or_b64 exec, exec, s[14:15]
.LBB1_90:                               ;   in Loop: Header=BB1_29 Depth=1
	s_or_b64 exec, exec, s[12:13]
	global_load_dwordx2 v[30:31], v29, s[2:3] offset:40
	global_load_dwordx4 v[22:25], v29, s[2:3]
	v_readfirstlane_b32 s12, v2
	v_readfirstlane_b32 s13, v3
	s_mov_b64 s[14:15], exec
	s_waitcnt vmcnt(1)
	v_readfirstlane_b32 s16, v30
	v_readfirstlane_b32 s17, v31
	s_and_b64 s[16:17], s[12:13], s[16:17]
	s_mul_i32 s18, s17, 24
	s_mul_hi_u32 s19, s16, 24
	s_add_i32 s19, s19, s18
	s_mul_i32 s18, s16, 24
	s_waitcnt vmcnt(0)
	v_lshl_add_u64 v[30:31], v[22:23], 0, s[18:19]
	s_and_saveexec_b64 s[18:19], s[0:1]
	s_cbranch_execz .LBB1_92
; %bb.91:                               ;   in Loop: Header=BB1_29 Depth=1
	v_mov_b64_e32 v[2:3], s[14:15]
	global_store_dwordx4 v[30:31], v[2:5], off offset:8
.LBB1_92:                               ;   in Loop: Header=BB1_29 Depth=1
	s_or_b64 exec, exec, s[18:19]
	s_lshl_b64 s[14:15], s[16:17], 12
	v_lshl_add_u64 v[2:3], v[24:25], 0, s[14:15]
	v_or_b32_e32 v24, 2, v6
	v_cmp_gt_u64_e64 vcc, s[8:9], 56
	s_lshl_b32 s14, s10, 2
	s_add_i32 s14, s14, 28
	v_cndmask_b32_e32 v6, v24, v6, vcc
	s_and_b32 s14, s14, 0x1e0
	v_and_b32_e32 v6, 0xffffff1f, v6
	v_or_b32_e32 v6, s14, v6
	v_readfirstlane_b32 s14, v2
	v_readfirstlane_b32 s15, v3
	s_nop 4
	global_store_dwordx4 v26, v[6:9], s[14:15]
	global_store_dwordx4 v26, v[10:13], s[14:15] offset:16
	global_store_dwordx4 v26, v[14:17], s[14:15] offset:32
	;; [unrolled: 1-line block ×3, first 2 shown]
	s_and_saveexec_b64 s[14:15], s[0:1]
	s_cbranch_execz .LBB1_100
; %bb.93:                               ;   in Loop: Header=BB1_29 Depth=1
	global_load_dwordx2 v[14:15], v29, s[2:3] offset:32 sc0 sc1
	global_load_dwordx2 v[6:7], v29, s[2:3] offset:40
	v_mov_b32_e32 v12, s12
	v_mov_b32_e32 v13, s13
	s_waitcnt vmcnt(0)
	v_readfirstlane_b32 s16, v6
	v_readfirstlane_b32 s17, v7
	s_and_b64 s[16:17], s[16:17], s[12:13]
	s_mul_i32 s17, s17, 24
	s_mul_hi_u32 s18, s16, 24
	s_mul_i32 s16, s16, 24
	s_add_i32 s17, s18, s17
	v_lshl_add_u64 v[10:11], v[22:23], 0, s[16:17]
	global_store_dwordx2 v[10:11], v[14:15], off
	buffer_wbl2 sc0 sc1
	s_waitcnt vmcnt(0)
	global_atomic_cmpswap_x2 v[8:9], v29, v[12:15], s[2:3] offset:32 sc0 sc1
	s_waitcnt vmcnt(0)
	v_cmp_ne_u64_e32 vcc, v[8:9], v[14:15]
	s_and_saveexec_b64 s[16:17], vcc
	s_cbranch_execz .LBB1_96
; %bb.94:                               ;   in Loop: Header=BB1_29 Depth=1
	s_mov_b64 s[18:19], 0
.LBB1_95:                               ;   Parent Loop BB1_29 Depth=1
                                        ; =>  This Inner Loop Header: Depth=2
	s_sleep 1
	global_store_dwordx2 v[10:11], v[8:9], off
	v_mov_b32_e32 v6, s12
	v_mov_b32_e32 v7, s13
	buffer_wbl2 sc0 sc1
	s_waitcnt vmcnt(0)
	global_atomic_cmpswap_x2 v[6:7], v29, v[6:9], s[2:3] offset:32 sc0 sc1
	s_waitcnt vmcnt(0)
	v_cmp_eq_u64_e32 vcc, v[6:7], v[8:9]
	s_or_b64 s[18:19], vcc, s[18:19]
	v_mov_b64_e32 v[8:9], v[6:7]
	s_andn2_b64 exec, exec, s[18:19]
	s_cbranch_execnz .LBB1_95
.LBB1_96:                               ;   in Loop: Header=BB1_29 Depth=1
	s_or_b64 exec, exec, s[16:17]
	global_load_dwordx2 v[6:7], v29, s[2:3] offset:16
	s_mov_b64 s[18:19], exec
	v_mbcnt_lo_u32_b32 v8, s18, 0
	v_mbcnt_hi_u32_b32 v8, s19, v8
	v_cmp_eq_u32_e32 vcc, 0, v8
	s_and_saveexec_b64 s[16:17], vcc
	s_cbranch_execz .LBB1_98
; %bb.97:                               ;   in Loop: Header=BB1_29 Depth=1
	s_bcnt1_i32_b64 s18, s[18:19]
	v_mov_b32_e32 v28, s18
	buffer_wbl2 sc0 sc1
	s_waitcnt vmcnt(0)
	global_atomic_add_x2 v[6:7], v[28:29], off offset:8 sc1
.LBB1_98:                               ;   in Loop: Header=BB1_29 Depth=1
	s_or_b64 exec, exec, s[16:17]
	s_waitcnt vmcnt(0)
	global_load_dwordx2 v[8:9], v[6:7], off offset:16
	s_waitcnt vmcnt(0)
	v_cmp_eq_u64_e32 vcc, 0, v[8:9]
	s_cbranch_vccnz .LBB1_100
; %bb.99:                               ;   in Loop: Header=BB1_29 Depth=1
	global_load_dword v28, v[6:7], off offset:24
	s_waitcnt vmcnt(0)
	v_and_b32_e32 v6, 0xffffff, v28
	s_nop 0
	v_readfirstlane_b32 m0, v6
	buffer_wbl2 sc0 sc1
	global_store_dwordx2 v[8:9], v[28:29], off sc0 sc1
	s_sendmsg sendmsg(MSG_INTERRUPT)
.LBB1_100:                              ;   in Loop: Header=BB1_29 Depth=1
	s_or_b64 exec, exec, s[14:15]
	v_mov_b32_e32 v27, v29
	v_lshl_add_u64 v[2:3], v[2:3], 0, v[26:27]
	s_branch .LBB1_104
.LBB1_101:                              ;   in Loop: Header=BB1_104 Depth=2
	s_or_b64 exec, exec, s[14:15]
	v_readfirstlane_b32 s14, v6
	s_cmp_eq_u32 s14, 0
	s_cbranch_scc1 .LBB1_103
; %bb.102:                              ;   in Loop: Header=BB1_104 Depth=2
	s_sleep 1
	s_cbranch_execnz .LBB1_104
	s_branch .LBB1_106
.LBB1_103:                              ;   in Loop: Header=BB1_29 Depth=1
	s_branch .LBB1_106
.LBB1_104:                              ;   Parent Loop BB1_29 Depth=1
                                        ; =>  This Inner Loop Header: Depth=2
	v_mov_b32_e32 v6, 1
	s_and_saveexec_b64 s[14:15], s[0:1]
	s_cbranch_execz .LBB1_101
; %bb.105:                              ;   in Loop: Header=BB1_104 Depth=2
	global_load_dword v6, v[30:31], off offset:20 sc0 sc1
	s_waitcnt vmcnt(0)
	buffer_inv sc0 sc1
	v_and_b32_e32 v6, 1, v6
	s_branch .LBB1_101
.LBB1_106:                              ;   in Loop: Header=BB1_29 Depth=1
	global_load_dwordx4 v[6:9], v[2:3], off
	s_and_saveexec_b64 s[14:15], s[0:1]
	s_cbranch_execz .LBB1_28
; %bb.107:                              ;   in Loop: Header=BB1_29 Depth=1
	global_load_dwordx2 v[2:3], v29, s[2:3] offset:40
	global_load_dwordx2 v[12:13], v29, s[2:3] offset:24 sc0 sc1
	global_load_dwordx2 v[14:15], v29, s[2:3]
	s_waitcnt vmcnt(2)
	v_lshl_add_u64 v[8:9], v[2:3], 0, 1
	v_lshl_add_u64 v[16:17], v[8:9], 0, s[12:13]
	v_cmp_eq_u64_e32 vcc, 0, v[16:17]
	s_waitcnt vmcnt(1)
	v_mov_b32_e32 v10, v12
	v_cndmask_b32_e32 v9, v17, v9, vcc
	v_cndmask_b32_e32 v8, v16, v8, vcc
	v_and_b32_e32 v3, v9, v3
	v_and_b32_e32 v2, v8, v2
	v_mul_lo_u32 v3, v3, 24
	v_mul_hi_u32 v11, v2, 24
	v_mul_lo_u32 v2, v2, 24
	v_add_u32_e32 v3, v11, v3
	s_waitcnt vmcnt(0)
	v_lshl_add_u64 v[2:3], v[14:15], 0, v[2:3]
	global_store_dwordx2 v[2:3], v[12:13], off
	v_mov_b32_e32 v11, v13
	buffer_wbl2 sc0 sc1
	s_waitcnt vmcnt(0)
	global_atomic_cmpswap_x2 v[10:11], v29, v[8:11], s[2:3] offset:24 sc0 sc1
	s_waitcnt vmcnt(0)
	v_cmp_ne_u64_e32 vcc, v[10:11], v[12:13]
	s_and_b64 exec, exec, vcc
	s_cbranch_execz .LBB1_28
; %bb.108:                              ;   in Loop: Header=BB1_29 Depth=1
	s_mov_b64 s[0:1], 0
.LBB1_109:                              ;   Parent Loop BB1_29 Depth=1
                                        ; =>  This Inner Loop Header: Depth=2
	s_sleep 1
	global_store_dwordx2 v[2:3], v[10:11], off
	buffer_wbl2 sc0 sc1
	s_waitcnt vmcnt(0)
	global_atomic_cmpswap_x2 v[12:13], v29, v[8:11], s[2:3] offset:24 sc0 sc1
	s_waitcnt vmcnt(0)
	v_cmp_eq_u64_e32 vcc, v[12:13], v[10:11]
	s_or_b64 s[0:1], vcc, s[0:1]
	v_mov_b64_e32 v[10:11], v[12:13]
	s_andn2_b64 exec, exec, s[0:1]
	s_cbranch_execnz .LBB1_109
	s_branch .LBB1_28
.LBB1_110:
.LBB1_111:
	s_andn2_saveexec_b64 s[4:5], s[4:5]
	s_cbranch_execz .LBB1_272
.LBB1_112:
	v_readfirstlane_b32 s0, v32
	v_mov_b64_e32 v[4:5], 0
	s_nop 0
	v_cmp_eq_u32_e64 s[0:1], s0, v32
	s_and_saveexec_b64 s[6:7], s[0:1]
	s_cbranch_execz .LBB1_118
; %bb.113:
	s_waitcnt vmcnt(0)
	v_mov_b32_e32 v0, 0
	s_waitcnt lgkmcnt(0)
	global_load_dwordx2 v[6:7], v0, s[2:3] offset:24 sc0 sc1
	s_waitcnt vmcnt(0)
	buffer_inv sc0 sc1
	global_load_dwordx2 v[2:3], v0, s[2:3] offset:40
	global_load_dwordx2 v[4:5], v0, s[2:3]
	s_waitcnt vmcnt(1)
	v_and_b32_e32 v1, v2, v6
	v_and_b32_e32 v2, v3, v7
	v_mul_lo_u32 v2, v2, 24
	v_mul_hi_u32 v3, v1, 24
	v_add_u32_e32 v3, v3, v2
	v_mul_lo_u32 v2, v1, 24
	s_waitcnt vmcnt(0)
	v_lshl_add_u64 v[2:3], v[4:5], 0, v[2:3]
	global_load_dwordx2 v[4:5], v[2:3], off sc0 sc1
	s_waitcnt vmcnt(0)
	global_atomic_cmpswap_x2 v[4:5], v0, v[4:7], s[2:3] offset:24 sc0 sc1
	s_waitcnt vmcnt(0)
	buffer_inv sc0 sc1
	v_cmp_ne_u64_e32 vcc, v[4:5], v[6:7]
	s_and_saveexec_b64 s[8:9], vcc
	s_cbranch_execz .LBB1_117
; %bb.114:
	s_mov_b64 s[10:11], 0
.LBB1_115:                              ; =>This Inner Loop Header: Depth=1
	s_sleep 1
	global_load_dwordx2 v[2:3], v0, s[2:3] offset:40
	global_load_dwordx2 v[8:9], v0, s[2:3]
	v_mov_b64_e32 v[6:7], v[4:5]
	s_waitcnt vmcnt(1)
	v_and_b32_e32 v2, v2, v6
	v_and_b32_e32 v1, v3, v7
	s_waitcnt vmcnt(0)
	v_mad_u64_u32 v[2:3], s[12:13], v2, 24, v[8:9]
	v_mov_b32_e32 v4, v3
	v_mad_u64_u32 v[4:5], s[12:13], v1, 24, v[4:5]
	v_mov_b32_e32 v3, v4
	global_load_dwordx2 v[4:5], v[2:3], off sc0 sc1
	s_waitcnt vmcnt(0)
	global_atomic_cmpswap_x2 v[4:5], v0, v[4:7], s[2:3] offset:24 sc0 sc1
	s_waitcnt vmcnt(0)
	buffer_inv sc0 sc1
	v_cmp_eq_u64_e32 vcc, v[4:5], v[6:7]
	s_or_b64 s[10:11], vcc, s[10:11]
	s_andn2_b64 exec, exec, s[10:11]
	s_cbranch_execnz .LBB1_115
; %bb.116:
	s_or_b64 exec, exec, s[10:11]
.LBB1_117:
	s_or_b64 exec, exec, s[8:9]
.LBB1_118:
	s_or_b64 exec, exec, s[6:7]
	v_mov_b32_e32 v27, 0
	s_waitcnt lgkmcnt(0)
	global_load_dwordx2 v[6:7], v27, s[2:3] offset:40
	global_load_dwordx4 v[0:3], v27, s[2:3]
	v_readfirstlane_b32 s6, v4
	v_readfirstlane_b32 s7, v5
	s_mov_b64 s[8:9], exec
	s_waitcnt vmcnt(1)
	v_readfirstlane_b32 s10, v6
	v_readfirstlane_b32 s11, v7
	s_and_b64 s[10:11], s[6:7], s[10:11]
	s_mul_i32 s12, s11, 24
	s_mul_hi_u32 s13, s10, 24
	s_add_i32 s13, s13, s12
	s_mul_i32 s12, s10, 24
	s_waitcnt vmcnt(0)
	v_lshl_add_u64 v[4:5], v[0:1], 0, s[12:13]
	s_and_saveexec_b64 s[12:13], s[0:1]
	s_cbranch_execz .LBB1_120
; %bb.119:
	v_mov_b64_e32 v[6:7], s[8:9]
	v_mov_b32_e32 v8, 2
	v_mov_b32_e32 v9, 1
	global_store_dwordx4 v[4:5], v[6:9], off offset:8
.LBB1_120:
	s_or_b64 exec, exec, s[12:13]
	s_lshl_b64 s[8:9], s[10:11], 12
	v_lshl_add_u64 v[6:7], v[2:3], 0, s[8:9]
	s_mov_b32 s8, 0
	v_lshlrev_b32_e32 v26, 6, v32
	v_mov_b32_e32 v8, 33
	v_mov_b32_e32 v9, v27
	;; [unrolled: 1-line block ×4, first 2 shown]
	v_readfirstlane_b32 s12, v6
	v_readfirstlane_b32 s13, v7
	s_mov_b32 s9, s8
	s_mov_b32 s10, s8
	s_mov_b32 s11, s8
	s_nop 1
	global_store_dwordx4 v26, v[8:11], s[12:13]
	s_nop 1
	v_mov_b64_e32 v[8:9], s[8:9]
	v_mov_b64_e32 v[10:11], s[10:11]
	global_store_dwordx4 v26, v[8:11], s[12:13] offset:16
	global_store_dwordx4 v26, v[8:11], s[12:13] offset:32
	;; [unrolled: 1-line block ×3, first 2 shown]
	s_and_saveexec_b64 s[8:9], s[0:1]
	s_cbranch_execz .LBB1_128
; %bb.121:
	v_mov_b32_e32 v10, 0
	global_load_dwordx2 v[14:15], v10, s[2:3] offset:32 sc0 sc1
	global_load_dwordx2 v[2:3], v10, s[2:3] offset:40
	v_mov_b32_e32 v12, s6
	v_mov_b32_e32 v13, s7
	s_waitcnt vmcnt(0)
	v_and_b32_e32 v2, s6, v2
	v_and_b32_e32 v3, s7, v3
	v_mul_lo_u32 v3, v3, 24
	v_mul_hi_u32 v8, v2, 24
	v_mul_lo_u32 v2, v2, 24
	v_add_u32_e32 v3, v8, v3
	v_lshl_add_u64 v[8:9], v[0:1], 0, v[2:3]
	global_store_dwordx2 v[8:9], v[14:15], off
	buffer_wbl2 sc0 sc1
	s_waitcnt vmcnt(0)
	global_atomic_cmpswap_x2 v[2:3], v10, v[12:15], s[2:3] offset:32 sc0 sc1
	s_waitcnt vmcnt(0)
	v_cmp_ne_u64_e32 vcc, v[2:3], v[14:15]
	s_and_saveexec_b64 s[10:11], vcc
	s_cbranch_execz .LBB1_124
; %bb.122:
	s_mov_b64 s[12:13], 0
.LBB1_123:                              ; =>This Inner Loop Header: Depth=1
	s_sleep 1
	global_store_dwordx2 v[8:9], v[2:3], off
	v_mov_b32_e32 v0, s6
	v_mov_b32_e32 v1, s7
	buffer_wbl2 sc0 sc1
	s_waitcnt vmcnt(0)
	global_atomic_cmpswap_x2 v[0:1], v10, v[0:3], s[2:3] offset:32 sc0 sc1
	s_waitcnt vmcnt(0)
	v_cmp_eq_u64_e32 vcc, v[0:1], v[2:3]
	s_or_b64 s[12:13], vcc, s[12:13]
	v_mov_b64_e32 v[2:3], v[0:1]
	s_andn2_b64 exec, exec, s[12:13]
	s_cbranch_execnz .LBB1_123
.LBB1_124:
	s_or_b64 exec, exec, s[10:11]
	v_mov_b32_e32 v3, 0
	global_load_dwordx2 v[0:1], v3, s[2:3] offset:16
	s_mov_b64 s[10:11], exec
	v_mbcnt_lo_u32_b32 v2, s10, 0
	v_mbcnt_hi_u32_b32 v2, s11, v2
	v_cmp_eq_u32_e32 vcc, 0, v2
	s_and_saveexec_b64 s[12:13], vcc
	s_cbranch_execz .LBB1_126
; %bb.125:
	s_bcnt1_i32_b64 s10, s[10:11]
	v_mov_b32_e32 v2, s10
	buffer_wbl2 sc0 sc1
	s_waitcnt vmcnt(0)
	global_atomic_add_x2 v[0:1], v[2:3], off offset:8 sc1
.LBB1_126:
	s_or_b64 exec, exec, s[12:13]
	s_waitcnt vmcnt(0)
	global_load_dwordx2 v[2:3], v[0:1], off offset:16
	s_waitcnt vmcnt(0)
	v_cmp_eq_u64_e32 vcc, 0, v[2:3]
	s_cbranch_vccnz .LBB1_128
; %bb.127:
	global_load_dword v0, v[0:1], off offset:24
	v_mov_b32_e32 v1, 0
	buffer_wbl2 sc0 sc1
	s_waitcnt vmcnt(0)
	global_store_dwordx2 v[2:3], v[0:1], off sc0 sc1
	v_and_b32_e32 v0, 0xffffff, v0
	s_nop 0
	v_readfirstlane_b32 m0, v0
	s_sendmsg sendmsg(MSG_INTERRUPT)
.LBB1_128:
	s_or_b64 exec, exec, s[8:9]
	v_lshl_add_u64 v[0:1], v[6:7], 0, v[26:27]
	s_branch .LBB1_132
.LBB1_129:                              ;   in Loop: Header=BB1_132 Depth=1
	s_or_b64 exec, exec, s[8:9]
	v_readfirstlane_b32 s8, v2
	s_cmp_eq_u32 s8, 0
	s_cbranch_scc1 .LBB1_131
; %bb.130:                              ;   in Loop: Header=BB1_132 Depth=1
	s_sleep 1
	s_cbranch_execnz .LBB1_132
	s_branch .LBB1_134
.LBB1_131:
	s_branch .LBB1_134
.LBB1_132:                              ; =>This Inner Loop Header: Depth=1
	v_mov_b32_e32 v2, 1
	s_and_saveexec_b64 s[8:9], s[0:1]
	s_cbranch_execz .LBB1_129
; %bb.133:                              ;   in Loop: Header=BB1_132 Depth=1
	global_load_dword v2, v[4:5], off offset:20 sc0 sc1
	s_waitcnt vmcnt(0)
	buffer_inv sc0 sc1
	v_and_b32_e32 v2, 1, v2
	s_branch .LBB1_129
.LBB1_134:
	global_load_dwordx2 v[0:1], v[0:1], off
	s_and_saveexec_b64 s[8:9], s[0:1]
	s_cbranch_execz .LBB1_137
; %bb.135:
	v_mov_b32_e32 v8, 0
	global_load_dwordx2 v[6:7], v8, s[2:3] offset:40
	global_load_dwordx2 v[10:11], v8, s[2:3] offset:24 sc0 sc1
	global_load_dwordx2 v[12:13], v8, s[2:3]
	s_mov_b64 s[0:1], 0
	s_waitcnt vmcnt(2)
	v_lshl_add_u64 v[2:3], v[6:7], 0, 1
	v_lshl_add_u64 v[14:15], v[2:3], 0, s[6:7]
	v_cmp_eq_u64_e32 vcc, 0, v[14:15]
	s_waitcnt vmcnt(1)
	v_mov_b32_e32 v4, v10
	v_cndmask_b32_e32 v3, v15, v3, vcc
	v_cndmask_b32_e32 v2, v14, v2, vcc
	v_and_b32_e32 v5, v3, v7
	v_and_b32_e32 v6, v2, v6
	v_mul_lo_u32 v5, v5, 24
	v_mul_hi_u32 v7, v6, 24
	v_mul_lo_u32 v6, v6, 24
	v_add_u32_e32 v7, v7, v5
	s_waitcnt vmcnt(0)
	v_lshl_add_u64 v[6:7], v[12:13], 0, v[6:7]
	global_store_dwordx2 v[6:7], v[10:11], off
	v_mov_b32_e32 v5, v11
	buffer_wbl2 sc0 sc1
	s_waitcnt vmcnt(0)
	global_atomic_cmpswap_x2 v[4:5], v8, v[2:5], s[2:3] offset:24 sc0 sc1
	s_waitcnt vmcnt(0)
	v_cmp_ne_u64_e32 vcc, v[4:5], v[10:11]
	s_and_b64 exec, exec, vcc
	s_cbranch_execz .LBB1_137
.LBB1_136:                              ; =>This Inner Loop Header: Depth=1
	s_sleep 1
	global_store_dwordx2 v[6:7], v[4:5], off
	buffer_wbl2 sc0 sc1
	s_waitcnt vmcnt(0)
	global_atomic_cmpswap_x2 v[10:11], v8, v[2:5], s[2:3] offset:24 sc0 sc1
	s_waitcnt vmcnt(0)
	v_cmp_eq_u64_e32 vcc, v[10:11], v[4:5]
	s_or_b64 s[0:1], vcc, s[0:1]
	v_mov_b64_e32 v[4:5], v[10:11]
	s_andn2_b64 exec, exec, s[0:1]
	s_cbranch_execnz .LBB1_136
.LBB1_137:
	s_or_b64 exec, exec, s[8:9]
	s_getpc_b64 s[6:7]
	s_add_u32 s6, s6, .str.10@rel32@lo+4
	s_addc_u32 s7, s7, .str.10@rel32@hi+12
	s_cmp_lg_u64 s[6:7], 0
	s_cbranch_scc0 .LBB1_249
; %bb.138:
	s_waitcnt vmcnt(0)
	v_and_b32_e32 v6, -3, v0
	v_mov_b32_e32 v7, v1
	s_mov_b64 s[8:9], 5
	v_mov_b32_e32 v29, 0
	v_mov_b32_e32 v4, 2
	;; [unrolled: 1-line block ×3, first 2 shown]
	s_branch .LBB1_140
.LBB1_139:                              ;   in Loop: Header=BB1_140 Depth=1
	s_or_b64 exec, exec, s[14:15]
	s_sub_u32 s8, s8, s10
	s_subb_u32 s9, s9, s11
	s_add_u32 s6, s6, s10
	s_addc_u32 s7, s7, s11
	s_cmp_eq_u64 s[8:9], 0
	s_cbranch_scc1 .LBB1_221
.LBB1_140:                              ; =>This Loop Header: Depth=1
                                        ;     Child Loop BB1_143 Depth 2
                                        ;     Child Loop BB1_150 Depth 2
	;; [unrolled: 1-line block ×11, first 2 shown]
	v_cmp_lt_u64_e64 s[0:1], s[8:9], 56
	s_and_b64 s[0:1], s[0:1], exec
	v_cmp_gt_u64_e64 s[0:1], s[8:9], 7
	s_cselect_b32 s11, s9, 0
	s_cselect_b32 s10, s8, 56
	s_and_b64 vcc, exec, s[0:1]
	s_cbranch_vccnz .LBB1_145
; %bb.141:                              ;   in Loop: Header=BB1_140 Depth=1
	s_mov_b64 s[0:1], 0
	s_cmp_eq_u64 s[8:9], 0
	s_waitcnt vmcnt(0)
	v_mov_b64_e32 v[8:9], 0
	s_cbranch_scc1 .LBB1_144
; %bb.142:                              ;   in Loop: Header=BB1_140 Depth=1
	s_lshl_b64 s[12:13], s[10:11], 3
	s_mov_b64 s[14:15], 0
	v_mov_b64_e32 v[8:9], 0
	s_mov_b64 s[16:17], s[6:7]
.LBB1_143:                              ;   Parent Loop BB1_140 Depth=1
                                        ; =>  This Inner Loop Header: Depth=2
	global_load_ubyte v2, v29, s[16:17]
	s_waitcnt vmcnt(0)
	v_and_b32_e32 v28, 0xffff, v2
	v_lshlrev_b64 v[2:3], s14, v[28:29]
	s_add_u32 s14, s14, 8
	s_addc_u32 s15, s15, 0
	s_add_u32 s16, s16, 1
	s_addc_u32 s17, s17, 0
	v_or_b32_e32 v8, v2, v8
	s_cmp_lg_u32 s12, s14
	v_or_b32_e32 v9, v3, v9
	s_cbranch_scc1 .LBB1_143
.LBB1_144:                              ;   in Loop: Header=BB1_140 Depth=1
	s_mov_b32 s16, 0
	s_andn2_b64 vcc, exec, s[0:1]
	s_mov_b64 s[0:1], s[6:7]
	s_cbranch_vccz .LBB1_146
	s_branch .LBB1_147
.LBB1_145:                              ;   in Loop: Header=BB1_140 Depth=1
                                        ; implicit-def: $sgpr16
	s_mov_b64 s[0:1], s[6:7]
.LBB1_146:                              ;   in Loop: Header=BB1_140 Depth=1
	global_load_dwordx2 v[8:9], v29, s[6:7]
	s_add_i32 s16, s10, -8
	s_add_u32 s0, s6, 8
	s_addc_u32 s1, s7, 0
.LBB1_147:                              ;   in Loop: Header=BB1_140 Depth=1
	s_cmp_gt_u32 s16, 7
	s_cbranch_scc1 .LBB1_151
; %bb.148:                              ;   in Loop: Header=BB1_140 Depth=1
	s_cmp_eq_u32 s16, 0
	s_cbranch_scc1 .LBB1_152
; %bb.149:                              ;   in Loop: Header=BB1_140 Depth=1
	s_mov_b64 s[12:13], 0
	v_mov_b64_e32 v[10:11], 0
	s_mov_b64 s[14:15], 0
.LBB1_150:                              ;   Parent Loop BB1_140 Depth=1
                                        ; =>  This Inner Loop Header: Depth=2
	s_add_u32 s18, s0, s14
	s_addc_u32 s19, s1, s15
	global_load_ubyte v2, v29, s[18:19]
	s_add_u32 s14, s14, 1
	s_addc_u32 s15, s15, 0
	s_waitcnt vmcnt(0)
	v_and_b32_e32 v28, 0xffff, v2
	v_lshlrev_b64 v[2:3], s12, v[28:29]
	s_add_u32 s12, s12, 8
	s_addc_u32 s13, s13, 0
	v_or_b32_e32 v10, v2, v10
	s_cmp_lg_u32 s16, s14
	v_or_b32_e32 v11, v3, v11
	s_cbranch_scc1 .LBB1_150
	s_branch .LBB1_153
.LBB1_151:                              ;   in Loop: Header=BB1_140 Depth=1
                                        ; implicit-def: $vgpr10_vgpr11
                                        ; implicit-def: $sgpr17
	s_branch .LBB1_154
.LBB1_152:                              ;   in Loop: Header=BB1_140 Depth=1
	v_mov_b64_e32 v[10:11], 0
.LBB1_153:                              ;   in Loop: Header=BB1_140 Depth=1
	s_mov_b32 s17, 0
	s_cbranch_execnz .LBB1_155
.LBB1_154:                              ;   in Loop: Header=BB1_140 Depth=1
	global_load_dwordx2 v[10:11], v29, s[0:1]
	s_add_i32 s17, s16, -8
	s_add_u32 s0, s0, 8
	s_addc_u32 s1, s1, 0
.LBB1_155:                              ;   in Loop: Header=BB1_140 Depth=1
	s_cmp_gt_u32 s17, 7
	s_cbranch_scc1 .LBB1_159
; %bb.156:                              ;   in Loop: Header=BB1_140 Depth=1
	s_cmp_eq_u32 s17, 0
	s_cbranch_scc1 .LBB1_160
; %bb.157:                              ;   in Loop: Header=BB1_140 Depth=1
	s_mov_b64 s[12:13], 0
	v_mov_b64_e32 v[12:13], 0
	s_mov_b64 s[14:15], 0
.LBB1_158:                              ;   Parent Loop BB1_140 Depth=1
                                        ; =>  This Inner Loop Header: Depth=2
	s_add_u32 s18, s0, s14
	s_addc_u32 s19, s1, s15
	global_load_ubyte v2, v29, s[18:19]
	s_add_u32 s14, s14, 1
	s_addc_u32 s15, s15, 0
	s_waitcnt vmcnt(0)
	v_and_b32_e32 v28, 0xffff, v2
	v_lshlrev_b64 v[2:3], s12, v[28:29]
	s_add_u32 s12, s12, 8
	s_addc_u32 s13, s13, 0
	v_or_b32_e32 v12, v2, v12
	s_cmp_lg_u32 s17, s14
	v_or_b32_e32 v13, v3, v13
	s_cbranch_scc1 .LBB1_158
	s_branch .LBB1_161
.LBB1_159:                              ;   in Loop: Header=BB1_140 Depth=1
                                        ; implicit-def: $sgpr16
	s_branch .LBB1_162
.LBB1_160:                              ;   in Loop: Header=BB1_140 Depth=1
	v_mov_b64_e32 v[12:13], 0
.LBB1_161:                              ;   in Loop: Header=BB1_140 Depth=1
	s_mov_b32 s16, 0
	s_cbranch_execnz .LBB1_163
.LBB1_162:                              ;   in Loop: Header=BB1_140 Depth=1
	global_load_dwordx2 v[12:13], v29, s[0:1]
	s_add_i32 s16, s17, -8
	s_add_u32 s0, s0, 8
	s_addc_u32 s1, s1, 0
.LBB1_163:                              ;   in Loop: Header=BB1_140 Depth=1
	s_cmp_gt_u32 s16, 7
	s_cbranch_scc1 .LBB1_167
; %bb.164:                              ;   in Loop: Header=BB1_140 Depth=1
	s_cmp_eq_u32 s16, 0
	s_cbranch_scc1 .LBB1_168
; %bb.165:                              ;   in Loop: Header=BB1_140 Depth=1
	s_mov_b64 s[12:13], 0
	v_mov_b64_e32 v[14:15], 0
	s_mov_b64 s[14:15], 0
.LBB1_166:                              ;   Parent Loop BB1_140 Depth=1
                                        ; =>  This Inner Loop Header: Depth=2
	s_add_u32 s18, s0, s14
	s_addc_u32 s19, s1, s15
	global_load_ubyte v2, v29, s[18:19]
	s_add_u32 s14, s14, 1
	s_addc_u32 s15, s15, 0
	s_waitcnt vmcnt(0)
	v_and_b32_e32 v28, 0xffff, v2
	v_lshlrev_b64 v[2:3], s12, v[28:29]
	s_add_u32 s12, s12, 8
	s_addc_u32 s13, s13, 0
	v_or_b32_e32 v14, v2, v14
	s_cmp_lg_u32 s16, s14
	v_or_b32_e32 v15, v3, v15
	s_cbranch_scc1 .LBB1_166
	s_branch .LBB1_169
.LBB1_167:                              ;   in Loop: Header=BB1_140 Depth=1
                                        ; implicit-def: $vgpr14_vgpr15
                                        ; implicit-def: $sgpr17
	s_branch .LBB1_170
.LBB1_168:                              ;   in Loop: Header=BB1_140 Depth=1
	v_mov_b64_e32 v[14:15], 0
.LBB1_169:                              ;   in Loop: Header=BB1_140 Depth=1
	s_mov_b32 s17, 0
	s_cbranch_execnz .LBB1_171
.LBB1_170:                              ;   in Loop: Header=BB1_140 Depth=1
	global_load_dwordx2 v[14:15], v29, s[0:1]
	s_add_i32 s17, s16, -8
	s_add_u32 s0, s0, 8
	s_addc_u32 s1, s1, 0
.LBB1_171:                              ;   in Loop: Header=BB1_140 Depth=1
	s_cmp_gt_u32 s17, 7
	s_cbranch_scc1 .LBB1_175
; %bb.172:                              ;   in Loop: Header=BB1_140 Depth=1
	s_cmp_eq_u32 s17, 0
	s_cbranch_scc1 .LBB1_176
; %bb.173:                              ;   in Loop: Header=BB1_140 Depth=1
	s_mov_b64 s[12:13], 0
	v_mov_b64_e32 v[16:17], 0
	s_mov_b64 s[14:15], 0
.LBB1_174:                              ;   Parent Loop BB1_140 Depth=1
                                        ; =>  This Inner Loop Header: Depth=2
	s_add_u32 s18, s0, s14
	s_addc_u32 s19, s1, s15
	global_load_ubyte v2, v29, s[18:19]
	s_add_u32 s14, s14, 1
	s_addc_u32 s15, s15, 0
	s_waitcnt vmcnt(0)
	v_and_b32_e32 v28, 0xffff, v2
	v_lshlrev_b64 v[2:3], s12, v[28:29]
	s_add_u32 s12, s12, 8
	s_addc_u32 s13, s13, 0
	v_or_b32_e32 v16, v2, v16
	s_cmp_lg_u32 s17, s14
	v_or_b32_e32 v17, v3, v17
	s_cbranch_scc1 .LBB1_174
	s_branch .LBB1_177
.LBB1_175:                              ;   in Loop: Header=BB1_140 Depth=1
                                        ; implicit-def: $sgpr16
	s_branch .LBB1_178
.LBB1_176:                              ;   in Loop: Header=BB1_140 Depth=1
	v_mov_b64_e32 v[16:17], 0
.LBB1_177:                              ;   in Loop: Header=BB1_140 Depth=1
	s_mov_b32 s16, 0
	s_cbranch_execnz .LBB1_179
.LBB1_178:                              ;   in Loop: Header=BB1_140 Depth=1
	global_load_dwordx2 v[16:17], v29, s[0:1]
	s_add_i32 s16, s17, -8
	s_add_u32 s0, s0, 8
	s_addc_u32 s1, s1, 0
.LBB1_179:                              ;   in Loop: Header=BB1_140 Depth=1
	s_cmp_gt_u32 s16, 7
	s_cbranch_scc1 .LBB1_183
; %bb.180:                              ;   in Loop: Header=BB1_140 Depth=1
	s_cmp_eq_u32 s16, 0
	s_cbranch_scc1 .LBB1_184
; %bb.181:                              ;   in Loop: Header=BB1_140 Depth=1
	s_mov_b64 s[12:13], 0
	v_mov_b64_e32 v[18:19], 0
	s_mov_b64 s[14:15], 0
.LBB1_182:                              ;   Parent Loop BB1_140 Depth=1
                                        ; =>  This Inner Loop Header: Depth=2
	s_add_u32 s18, s0, s14
	s_addc_u32 s19, s1, s15
	global_load_ubyte v2, v29, s[18:19]
	s_add_u32 s14, s14, 1
	s_addc_u32 s15, s15, 0
	s_waitcnt vmcnt(0)
	v_and_b32_e32 v28, 0xffff, v2
	v_lshlrev_b64 v[2:3], s12, v[28:29]
	s_add_u32 s12, s12, 8
	s_addc_u32 s13, s13, 0
	v_or_b32_e32 v18, v2, v18
	s_cmp_lg_u32 s16, s14
	v_or_b32_e32 v19, v3, v19
	s_cbranch_scc1 .LBB1_182
	s_branch .LBB1_185
.LBB1_183:                              ;   in Loop: Header=BB1_140 Depth=1
                                        ; implicit-def: $vgpr18_vgpr19
                                        ; implicit-def: $sgpr17
	s_branch .LBB1_186
.LBB1_184:                              ;   in Loop: Header=BB1_140 Depth=1
	v_mov_b64_e32 v[18:19], 0
.LBB1_185:                              ;   in Loop: Header=BB1_140 Depth=1
	s_mov_b32 s17, 0
	s_cbranch_execnz .LBB1_187
.LBB1_186:                              ;   in Loop: Header=BB1_140 Depth=1
	global_load_dwordx2 v[18:19], v29, s[0:1]
	s_add_i32 s17, s16, -8
	s_add_u32 s0, s0, 8
	s_addc_u32 s1, s1, 0
.LBB1_187:                              ;   in Loop: Header=BB1_140 Depth=1
	s_cmp_gt_u32 s17, 7
	s_cbranch_scc1 .LBB1_191
; %bb.188:                              ;   in Loop: Header=BB1_140 Depth=1
	s_cmp_eq_u32 s17, 0
	s_cbranch_scc1 .LBB1_192
; %bb.189:                              ;   in Loop: Header=BB1_140 Depth=1
	s_mov_b64 s[12:13], 0
	v_mov_b64_e32 v[20:21], 0
	s_mov_b64 s[14:15], s[0:1]
.LBB1_190:                              ;   Parent Loop BB1_140 Depth=1
                                        ; =>  This Inner Loop Header: Depth=2
	global_load_ubyte v2, v29, s[14:15]
	s_add_i32 s17, s17, -1
	s_waitcnt vmcnt(0)
	v_and_b32_e32 v28, 0xffff, v2
	v_lshlrev_b64 v[2:3], s12, v[28:29]
	s_add_u32 s12, s12, 8
	s_addc_u32 s13, s13, 0
	s_add_u32 s14, s14, 1
	s_addc_u32 s15, s15, 0
	v_or_b32_e32 v20, v2, v20
	s_cmp_lg_u32 s17, 0
	v_or_b32_e32 v21, v3, v21
	s_cbranch_scc1 .LBB1_190
	s_branch .LBB1_193
.LBB1_191:                              ;   in Loop: Header=BB1_140 Depth=1
	s_branch .LBB1_194
.LBB1_192:                              ;   in Loop: Header=BB1_140 Depth=1
	v_mov_b64_e32 v[20:21], 0
.LBB1_193:                              ;   in Loop: Header=BB1_140 Depth=1
	s_cbranch_execnz .LBB1_195
.LBB1_194:                              ;   in Loop: Header=BB1_140 Depth=1
	global_load_dwordx2 v[20:21], v29, s[0:1]
.LBB1_195:                              ;   in Loop: Header=BB1_140 Depth=1
	v_readfirstlane_b32 s0, v32
	v_mov_b64_e32 v[2:3], 0
	s_nop 0
	v_cmp_eq_u32_e64 s[0:1], s0, v32
	s_and_saveexec_b64 s[12:13], s[0:1]
	s_cbranch_execz .LBB1_201
; %bb.196:                              ;   in Loop: Header=BB1_140 Depth=1
	global_load_dwordx2 v[24:25], v29, s[2:3] offset:24 sc0 sc1
	s_waitcnt vmcnt(0)
	buffer_inv sc0 sc1
	global_load_dwordx2 v[2:3], v29, s[2:3] offset:40
	global_load_dwordx2 v[22:23], v29, s[2:3]
	s_waitcnt vmcnt(1)
	v_and_b32_e32 v2, v2, v24
	v_and_b32_e32 v3, v3, v25
	v_mul_lo_u32 v3, v3, 24
	v_mul_hi_u32 v27, v2, 24
	v_add_u32_e32 v3, v27, v3
	v_mul_lo_u32 v2, v2, 24
	s_waitcnt vmcnt(0)
	v_lshl_add_u64 v[2:3], v[22:23], 0, v[2:3]
	global_load_dwordx2 v[22:23], v[2:3], off sc0 sc1
	s_waitcnt vmcnt(0)
	global_atomic_cmpswap_x2 v[2:3], v29, v[22:25], s[2:3] offset:24 sc0 sc1
	s_waitcnt vmcnt(0)
	buffer_inv sc0 sc1
	v_cmp_ne_u64_e32 vcc, v[2:3], v[24:25]
	s_and_saveexec_b64 s[14:15], vcc
	s_cbranch_execz .LBB1_200
; %bb.197:                              ;   in Loop: Header=BB1_140 Depth=1
	s_mov_b64 s[16:17], 0
.LBB1_198:                              ;   Parent Loop BB1_140 Depth=1
                                        ; =>  This Inner Loop Header: Depth=2
	s_sleep 1
	global_load_dwordx2 v[22:23], v29, s[2:3] offset:40
	global_load_dwordx2 v[30:31], v29, s[2:3]
	v_mov_b64_e32 v[24:25], v[2:3]
	s_waitcnt vmcnt(1)
	v_and_b32_e32 v2, v22, v24
	s_waitcnt vmcnt(0)
	v_mad_u64_u32 v[2:3], s[18:19], v2, 24, v[30:31]
	v_and_b32_e32 v23, v23, v25
	v_mov_b32_e32 v22, v3
	v_mad_u64_u32 v[22:23], s[18:19], v23, 24, v[22:23]
	v_mov_b32_e32 v3, v22
	global_load_dwordx2 v[22:23], v[2:3], off sc0 sc1
	s_waitcnt vmcnt(0)
	global_atomic_cmpswap_x2 v[2:3], v29, v[22:25], s[2:3] offset:24 sc0 sc1
	s_waitcnt vmcnt(0)
	buffer_inv sc0 sc1
	v_cmp_eq_u64_e32 vcc, v[2:3], v[24:25]
	s_or_b64 s[16:17], vcc, s[16:17]
	s_andn2_b64 exec, exec, s[16:17]
	s_cbranch_execnz .LBB1_198
; %bb.199:                              ;   in Loop: Header=BB1_140 Depth=1
	s_or_b64 exec, exec, s[16:17]
.LBB1_200:                              ;   in Loop: Header=BB1_140 Depth=1
	s_or_b64 exec, exec, s[14:15]
.LBB1_201:                              ;   in Loop: Header=BB1_140 Depth=1
	s_or_b64 exec, exec, s[12:13]
	global_load_dwordx2 v[30:31], v29, s[2:3] offset:40
	global_load_dwordx4 v[22:25], v29, s[2:3]
	v_readfirstlane_b32 s12, v2
	v_readfirstlane_b32 s13, v3
	s_mov_b64 s[14:15], exec
	s_waitcnt vmcnt(1)
	v_readfirstlane_b32 s16, v30
	v_readfirstlane_b32 s17, v31
	s_and_b64 s[16:17], s[12:13], s[16:17]
	s_mul_i32 s18, s17, 24
	s_mul_hi_u32 s19, s16, 24
	s_add_i32 s19, s19, s18
	s_mul_i32 s18, s16, 24
	s_waitcnt vmcnt(0)
	v_lshl_add_u64 v[30:31], v[22:23], 0, s[18:19]
	s_and_saveexec_b64 s[18:19], s[0:1]
	s_cbranch_execz .LBB1_203
; %bb.202:                              ;   in Loop: Header=BB1_140 Depth=1
	v_mov_b64_e32 v[2:3], s[14:15]
	global_store_dwordx4 v[30:31], v[2:5], off offset:8
.LBB1_203:                              ;   in Loop: Header=BB1_140 Depth=1
	s_or_b64 exec, exec, s[18:19]
	s_lshl_b64 s[14:15], s[16:17], 12
	v_lshl_add_u64 v[2:3], v[24:25], 0, s[14:15]
	v_or_b32_e32 v24, 2, v6
	v_cmp_gt_u64_e64 vcc, s[8:9], 56
	s_lshl_b32 s14, s10, 2
	s_add_i32 s14, s14, 28
	v_cndmask_b32_e32 v6, v24, v6, vcc
	s_and_b32 s14, s14, 0x1e0
	v_and_b32_e32 v6, 0xffffff1f, v6
	v_or_b32_e32 v6, s14, v6
	v_readfirstlane_b32 s14, v2
	v_readfirstlane_b32 s15, v3
	s_nop 4
	global_store_dwordx4 v26, v[6:9], s[14:15]
	global_store_dwordx4 v26, v[10:13], s[14:15] offset:16
	global_store_dwordx4 v26, v[14:17], s[14:15] offset:32
	;; [unrolled: 1-line block ×3, first 2 shown]
	s_and_saveexec_b64 s[14:15], s[0:1]
	s_cbranch_execz .LBB1_211
; %bb.204:                              ;   in Loop: Header=BB1_140 Depth=1
	global_load_dwordx2 v[14:15], v29, s[2:3] offset:32 sc0 sc1
	global_load_dwordx2 v[6:7], v29, s[2:3] offset:40
	v_mov_b32_e32 v12, s12
	v_mov_b32_e32 v13, s13
	s_waitcnt vmcnt(0)
	v_readfirstlane_b32 s16, v6
	v_readfirstlane_b32 s17, v7
	s_and_b64 s[16:17], s[16:17], s[12:13]
	s_mul_i32 s17, s17, 24
	s_mul_hi_u32 s18, s16, 24
	s_mul_i32 s16, s16, 24
	s_add_i32 s17, s18, s17
	v_lshl_add_u64 v[10:11], v[22:23], 0, s[16:17]
	global_store_dwordx2 v[10:11], v[14:15], off
	buffer_wbl2 sc0 sc1
	s_waitcnt vmcnt(0)
	global_atomic_cmpswap_x2 v[8:9], v29, v[12:15], s[2:3] offset:32 sc0 sc1
	s_waitcnt vmcnt(0)
	v_cmp_ne_u64_e32 vcc, v[8:9], v[14:15]
	s_and_saveexec_b64 s[16:17], vcc
	s_cbranch_execz .LBB1_207
; %bb.205:                              ;   in Loop: Header=BB1_140 Depth=1
	s_mov_b64 s[18:19], 0
.LBB1_206:                              ;   Parent Loop BB1_140 Depth=1
                                        ; =>  This Inner Loop Header: Depth=2
	s_sleep 1
	global_store_dwordx2 v[10:11], v[8:9], off
	v_mov_b32_e32 v6, s12
	v_mov_b32_e32 v7, s13
	buffer_wbl2 sc0 sc1
	s_waitcnt vmcnt(0)
	global_atomic_cmpswap_x2 v[6:7], v29, v[6:9], s[2:3] offset:32 sc0 sc1
	s_waitcnt vmcnt(0)
	v_cmp_eq_u64_e32 vcc, v[6:7], v[8:9]
	s_or_b64 s[18:19], vcc, s[18:19]
	v_mov_b64_e32 v[8:9], v[6:7]
	s_andn2_b64 exec, exec, s[18:19]
	s_cbranch_execnz .LBB1_206
.LBB1_207:                              ;   in Loop: Header=BB1_140 Depth=1
	s_or_b64 exec, exec, s[16:17]
	global_load_dwordx2 v[6:7], v29, s[2:3] offset:16
	s_mov_b64 s[18:19], exec
	v_mbcnt_lo_u32_b32 v8, s18, 0
	v_mbcnt_hi_u32_b32 v8, s19, v8
	v_cmp_eq_u32_e32 vcc, 0, v8
	s_and_saveexec_b64 s[16:17], vcc
	s_cbranch_execz .LBB1_209
; %bb.208:                              ;   in Loop: Header=BB1_140 Depth=1
	s_bcnt1_i32_b64 s18, s[18:19]
	v_mov_b32_e32 v28, s18
	buffer_wbl2 sc0 sc1
	s_waitcnt vmcnt(0)
	global_atomic_add_x2 v[6:7], v[28:29], off offset:8 sc1
.LBB1_209:                              ;   in Loop: Header=BB1_140 Depth=1
	s_or_b64 exec, exec, s[16:17]
	s_waitcnt vmcnt(0)
	global_load_dwordx2 v[8:9], v[6:7], off offset:16
	s_waitcnt vmcnt(0)
	v_cmp_eq_u64_e32 vcc, 0, v[8:9]
	s_cbranch_vccnz .LBB1_211
; %bb.210:                              ;   in Loop: Header=BB1_140 Depth=1
	global_load_dword v28, v[6:7], off offset:24
	s_waitcnt vmcnt(0)
	v_and_b32_e32 v6, 0xffffff, v28
	s_nop 0
	v_readfirstlane_b32 m0, v6
	buffer_wbl2 sc0 sc1
	global_store_dwordx2 v[8:9], v[28:29], off sc0 sc1
	s_sendmsg sendmsg(MSG_INTERRUPT)
.LBB1_211:                              ;   in Loop: Header=BB1_140 Depth=1
	s_or_b64 exec, exec, s[14:15]
	v_mov_b32_e32 v27, v29
	v_lshl_add_u64 v[2:3], v[2:3], 0, v[26:27]
	s_branch .LBB1_215
.LBB1_212:                              ;   in Loop: Header=BB1_215 Depth=2
	s_or_b64 exec, exec, s[14:15]
	v_readfirstlane_b32 s14, v6
	s_cmp_eq_u32 s14, 0
	s_cbranch_scc1 .LBB1_214
; %bb.213:                              ;   in Loop: Header=BB1_215 Depth=2
	s_sleep 1
	s_cbranch_execnz .LBB1_215
	s_branch .LBB1_217
.LBB1_214:                              ;   in Loop: Header=BB1_140 Depth=1
	s_branch .LBB1_217
.LBB1_215:                              ;   Parent Loop BB1_140 Depth=1
                                        ; =>  This Inner Loop Header: Depth=2
	v_mov_b32_e32 v6, 1
	s_and_saveexec_b64 s[14:15], s[0:1]
	s_cbranch_execz .LBB1_212
; %bb.216:                              ;   in Loop: Header=BB1_215 Depth=2
	global_load_dword v6, v[30:31], off offset:20 sc0 sc1
	s_waitcnt vmcnt(0)
	buffer_inv sc0 sc1
	v_and_b32_e32 v6, 1, v6
	s_branch .LBB1_212
.LBB1_217:                              ;   in Loop: Header=BB1_140 Depth=1
	global_load_dwordx4 v[6:9], v[2:3], off
	s_and_saveexec_b64 s[14:15], s[0:1]
	s_cbranch_execz .LBB1_139
; %bb.218:                              ;   in Loop: Header=BB1_140 Depth=1
	global_load_dwordx2 v[2:3], v29, s[2:3] offset:40
	global_load_dwordx2 v[12:13], v29, s[2:3] offset:24 sc0 sc1
	global_load_dwordx2 v[14:15], v29, s[2:3]
	s_waitcnt vmcnt(2)
	v_lshl_add_u64 v[8:9], v[2:3], 0, 1
	v_lshl_add_u64 v[16:17], v[8:9], 0, s[12:13]
	v_cmp_eq_u64_e32 vcc, 0, v[16:17]
	s_waitcnt vmcnt(1)
	v_mov_b32_e32 v10, v12
	v_cndmask_b32_e32 v9, v17, v9, vcc
	v_cndmask_b32_e32 v8, v16, v8, vcc
	v_and_b32_e32 v3, v9, v3
	v_and_b32_e32 v2, v8, v2
	v_mul_lo_u32 v3, v3, 24
	v_mul_hi_u32 v11, v2, 24
	v_mul_lo_u32 v2, v2, 24
	v_add_u32_e32 v3, v11, v3
	s_waitcnt vmcnt(0)
	v_lshl_add_u64 v[2:3], v[14:15], 0, v[2:3]
	global_store_dwordx2 v[2:3], v[12:13], off
	v_mov_b32_e32 v11, v13
	buffer_wbl2 sc0 sc1
	s_waitcnt vmcnt(0)
	global_atomic_cmpswap_x2 v[10:11], v29, v[8:11], s[2:3] offset:24 sc0 sc1
	s_waitcnt vmcnt(0)
	v_cmp_ne_u64_e32 vcc, v[10:11], v[12:13]
	s_and_b64 exec, exec, vcc
	s_cbranch_execz .LBB1_139
; %bb.219:                              ;   in Loop: Header=BB1_140 Depth=1
	s_mov_b64 s[0:1], 0
.LBB1_220:                              ;   Parent Loop BB1_140 Depth=1
                                        ; =>  This Inner Loop Header: Depth=2
	s_sleep 1
	global_store_dwordx2 v[2:3], v[10:11], off
	buffer_wbl2 sc0 sc1
	s_waitcnt vmcnt(0)
	global_atomic_cmpswap_x2 v[12:13], v29, v[8:11], s[2:3] offset:24 sc0 sc1
	s_waitcnt vmcnt(0)
	v_cmp_eq_u64_e32 vcc, v[12:13], v[10:11]
	s_or_b64 s[0:1], vcc, s[0:1]
	v_mov_b64_e32 v[10:11], v[12:13]
	s_andn2_b64 exec, exec, s[0:1]
	s_cbranch_execnz .LBB1_220
	s_branch .LBB1_139
.LBB1_221:
	s_branch .LBB1_272
.LBB1_222:
	s_cbranch_execz .LBB1_111
; %bb.223:
	v_readfirstlane_b32 s0, v32
	s_waitcnt vmcnt(0)
	v_mov_b64_e32 v[8:9], 0
	v_cmp_eq_u32_e64 s[0:1], s0, v32
	s_and_saveexec_b64 s[6:7], s[0:1]
	s_cbranch_execz .LBB1_229
; %bb.224:
	v_mov_b32_e32 v2, 0
	global_load_dwordx2 v[6:7], v2, s[2:3] offset:24 sc0 sc1
	s_waitcnt vmcnt(0)
	buffer_inv sc0 sc1
	global_load_dwordx2 v[4:5], v2, s[2:3] offset:40
	global_load_dwordx2 v[8:9], v2, s[2:3]
	s_waitcnt vmcnt(1)
	v_and_b32_e32 v3, v4, v6
	v_and_b32_e32 v4, v5, v7
	v_mul_lo_u32 v4, v4, 24
	v_mul_hi_u32 v5, v3, 24
	v_add_u32_e32 v5, v5, v4
	v_mul_lo_u32 v4, v3, 24
	s_waitcnt vmcnt(0)
	v_lshl_add_u64 v[4:5], v[8:9], 0, v[4:5]
	global_load_dwordx2 v[4:5], v[4:5], off sc0 sc1
	s_waitcnt vmcnt(0)
	global_atomic_cmpswap_x2 v[8:9], v2, v[4:7], s[2:3] offset:24 sc0 sc1
	s_waitcnt vmcnt(0)
	buffer_inv sc0 sc1
	v_cmp_ne_u64_e32 vcc, v[8:9], v[6:7]
	s_and_saveexec_b64 s[8:9], vcc
	s_cbranch_execz .LBB1_228
; %bb.225:
	s_mov_b64 s[10:11], 0
.LBB1_226:                              ; =>This Inner Loop Header: Depth=1
	s_sleep 1
	global_load_dwordx2 v[4:5], v2, s[2:3] offset:40
	global_load_dwordx2 v[10:11], v2, s[2:3]
	v_mov_b64_e32 v[6:7], v[8:9]
	s_waitcnt vmcnt(1)
	v_and_b32_e32 v4, v4, v6
	v_and_b32_e32 v3, v5, v7
	s_waitcnt vmcnt(0)
	v_mad_u64_u32 v[4:5], s[12:13], v4, 24, v[10:11]
	v_mov_b32_e32 v8, v5
	v_mad_u64_u32 v[8:9], s[12:13], v3, 24, v[8:9]
	v_mov_b32_e32 v5, v8
	global_load_dwordx2 v[4:5], v[4:5], off sc0 sc1
	s_waitcnt vmcnt(0)
	global_atomic_cmpswap_x2 v[8:9], v2, v[4:7], s[2:3] offset:24 sc0 sc1
	s_waitcnt vmcnt(0)
	buffer_inv sc0 sc1
	v_cmp_eq_u64_e32 vcc, v[8:9], v[6:7]
	s_or_b64 s[10:11], vcc, s[10:11]
	s_andn2_b64 exec, exec, s[10:11]
	s_cbranch_execnz .LBB1_226
; %bb.227:
	s_or_b64 exec, exec, s[10:11]
.LBB1_228:
	s_or_b64 exec, exec, s[8:9]
.LBB1_229:
	s_or_b64 exec, exec, s[6:7]
	v_mov_b32_e32 v2, 0
	global_load_dwordx2 v[10:11], v2, s[2:3] offset:40
	global_load_dwordx4 v[4:7], v2, s[2:3]
	v_readfirstlane_b32 s6, v8
	v_readfirstlane_b32 s7, v9
	s_mov_b64 s[8:9], exec
	s_waitcnt vmcnt(1)
	v_readfirstlane_b32 s10, v10
	v_readfirstlane_b32 s11, v11
	s_and_b64 s[10:11], s[6:7], s[10:11]
	s_mul_i32 s12, s11, 24
	s_mul_hi_u32 s13, s10, 24
	s_add_i32 s13, s13, s12
	s_mul_i32 s12, s10, 24
	s_waitcnt vmcnt(0)
	v_lshl_add_u64 v[8:9], v[4:5], 0, s[12:13]
	s_and_saveexec_b64 s[12:13], s[0:1]
	s_cbranch_execz .LBB1_231
; %bb.230:
	v_mov_b64_e32 v[10:11], s[8:9]
	v_mov_b32_e32 v12, 2
	v_mov_b32_e32 v13, 1
	global_store_dwordx4 v[8:9], v[10:13], off offset:8
.LBB1_231:
	s_or_b64 exec, exec, s[12:13]
	s_lshl_b64 s[8:9], s[10:11], 12
	v_lshl_add_u64 v[6:7], v[6:7], 0, s[8:9]
	s_movk_i32 s8, 0xff1d
	v_and_or_b32 v0, v0, s8, 34
	s_mov_b32 s8, 0
	v_mov_b32_e32 v3, v2
	v_readfirstlane_b32 s12, v6
	v_readfirstlane_b32 s13, v7
	s_mov_b32 s9, s8
	s_mov_b32 s10, s8
	;; [unrolled: 1-line block ×3, first 2 shown]
	s_nop 1
	global_store_dwordx4 v26, v[0:3], s[12:13]
	s_nop 1
	v_mov_b64_e32 v[0:1], s[8:9]
	v_mov_b64_e32 v[2:3], s[10:11]
	global_store_dwordx4 v26, v[0:3], s[12:13] offset:16
	global_store_dwordx4 v26, v[0:3], s[12:13] offset:32
	;; [unrolled: 1-line block ×3, first 2 shown]
	s_and_saveexec_b64 s[8:9], s[0:1]
	s_cbranch_execz .LBB1_239
; %bb.232:
	v_mov_b32_e32 v6, 0
	global_load_dwordx2 v[12:13], v6, s[2:3] offset:32 sc0 sc1
	global_load_dwordx2 v[0:1], v6, s[2:3] offset:40
	v_mov_b32_e32 v10, s6
	v_mov_b32_e32 v11, s7
	s_waitcnt vmcnt(0)
	v_readfirstlane_b32 s10, v0
	v_readfirstlane_b32 s11, v1
	s_and_b64 s[10:11], s[10:11], s[6:7]
	s_mul_i32 s11, s11, 24
	s_mul_hi_u32 s12, s10, 24
	s_mul_i32 s10, s10, 24
	s_add_i32 s11, s12, s11
	v_lshl_add_u64 v[4:5], v[4:5], 0, s[10:11]
	global_store_dwordx2 v[4:5], v[12:13], off
	buffer_wbl2 sc0 sc1
	s_waitcnt vmcnt(0)
	global_atomic_cmpswap_x2 v[2:3], v6, v[10:13], s[2:3] offset:32 sc0 sc1
	s_waitcnt vmcnt(0)
	v_cmp_ne_u64_e32 vcc, v[2:3], v[12:13]
	s_and_saveexec_b64 s[10:11], vcc
	s_cbranch_execz .LBB1_235
; %bb.233:
	s_mov_b64 s[12:13], 0
.LBB1_234:                              ; =>This Inner Loop Header: Depth=1
	s_sleep 1
	global_store_dwordx2 v[4:5], v[2:3], off
	v_mov_b32_e32 v0, s6
	v_mov_b32_e32 v1, s7
	buffer_wbl2 sc0 sc1
	s_waitcnt vmcnt(0)
	global_atomic_cmpswap_x2 v[0:1], v6, v[0:3], s[2:3] offset:32 sc0 sc1
	s_waitcnt vmcnt(0)
	v_cmp_eq_u64_e32 vcc, v[0:1], v[2:3]
	s_or_b64 s[12:13], vcc, s[12:13]
	v_mov_b64_e32 v[2:3], v[0:1]
	s_andn2_b64 exec, exec, s[12:13]
	s_cbranch_execnz .LBB1_234
.LBB1_235:
	s_or_b64 exec, exec, s[10:11]
	v_mov_b32_e32 v3, 0
	global_load_dwordx2 v[0:1], v3, s[2:3] offset:16
	s_mov_b64 s[10:11], exec
	v_mbcnt_lo_u32_b32 v2, s10, 0
	v_mbcnt_hi_u32_b32 v2, s11, v2
	v_cmp_eq_u32_e32 vcc, 0, v2
	s_and_saveexec_b64 s[12:13], vcc
	s_cbranch_execz .LBB1_237
; %bb.236:
	s_bcnt1_i32_b64 s10, s[10:11]
	v_mov_b32_e32 v2, s10
	buffer_wbl2 sc0 sc1
	s_waitcnt vmcnt(0)
	global_atomic_add_x2 v[0:1], v[2:3], off offset:8 sc1
.LBB1_237:
	s_or_b64 exec, exec, s[12:13]
	s_waitcnt vmcnt(0)
	global_load_dwordx2 v[2:3], v[0:1], off offset:16
	s_waitcnt vmcnt(0)
	v_cmp_eq_u64_e32 vcc, 0, v[2:3]
	s_cbranch_vccnz .LBB1_239
; %bb.238:
	global_load_dword v0, v[0:1], off offset:24
	v_mov_b32_e32 v1, 0
	buffer_wbl2 sc0 sc1
	s_waitcnt vmcnt(0)
	global_store_dwordx2 v[2:3], v[0:1], off sc0 sc1
	v_and_b32_e32 v0, 0xffffff, v0
	s_nop 0
	v_readfirstlane_b32 m0, v0
	s_sendmsg sendmsg(MSG_INTERRUPT)
.LBB1_239:
	s_or_b64 exec, exec, s[8:9]
	s_branch .LBB1_243
.LBB1_240:                              ;   in Loop: Header=BB1_243 Depth=1
	s_or_b64 exec, exec, s[8:9]
	v_readfirstlane_b32 s8, v0
	s_cmp_eq_u32 s8, 0
	s_cbranch_scc1 .LBB1_242
; %bb.241:                              ;   in Loop: Header=BB1_243 Depth=1
	s_sleep 1
	s_cbranch_execnz .LBB1_243
	s_branch .LBB1_245
.LBB1_242:
	s_branch .LBB1_245
.LBB1_243:                              ; =>This Inner Loop Header: Depth=1
	v_mov_b32_e32 v0, 1
	s_and_saveexec_b64 s[8:9], s[0:1]
	s_cbranch_execz .LBB1_240
; %bb.244:                              ;   in Loop: Header=BB1_243 Depth=1
	global_load_dword v0, v[8:9], off offset:20 sc0 sc1
	s_waitcnt vmcnt(0)
	buffer_inv sc0 sc1
	v_and_b32_e32 v0, 1, v0
	s_branch .LBB1_240
.LBB1_245:
	s_and_saveexec_b64 s[8:9], s[0:1]
	s_cbranch_execz .LBB1_248
; %bb.246:
	v_mov_b32_e32 v6, 0
	global_load_dwordx2 v[4:5], v6, s[2:3] offset:40
	global_load_dwordx2 v[8:9], v6, s[2:3] offset:24 sc0 sc1
	global_load_dwordx2 v[10:11], v6, s[2:3]
	s_mov_b64 s[0:1], 0
	s_waitcnt vmcnt(2)
	v_lshl_add_u64 v[0:1], v[4:5], 0, 1
	v_lshl_add_u64 v[12:13], v[0:1], 0, s[6:7]
	v_cmp_eq_u64_e32 vcc, 0, v[12:13]
	s_waitcnt vmcnt(1)
	v_mov_b32_e32 v2, v8
	v_cndmask_b32_e32 v1, v13, v1, vcc
	v_cndmask_b32_e32 v0, v12, v0, vcc
	v_and_b32_e32 v3, v1, v5
	v_and_b32_e32 v4, v0, v4
	v_mul_lo_u32 v3, v3, 24
	v_mul_hi_u32 v5, v4, 24
	v_mul_lo_u32 v4, v4, 24
	v_add_u32_e32 v5, v5, v3
	s_waitcnt vmcnt(0)
	v_lshl_add_u64 v[4:5], v[10:11], 0, v[4:5]
	global_store_dwordx2 v[4:5], v[8:9], off
	v_mov_b32_e32 v3, v9
	buffer_wbl2 sc0 sc1
	s_waitcnt vmcnt(0)
	global_atomic_cmpswap_x2 v[2:3], v6, v[0:3], s[2:3] offset:24 sc0 sc1
	s_waitcnt vmcnt(0)
	v_cmp_ne_u64_e32 vcc, v[2:3], v[8:9]
	s_and_b64 exec, exec, vcc
	s_cbranch_execz .LBB1_248
.LBB1_247:                              ; =>This Inner Loop Header: Depth=1
	s_sleep 1
	global_store_dwordx2 v[4:5], v[2:3], off
	buffer_wbl2 sc0 sc1
	s_waitcnt vmcnt(0)
	global_atomic_cmpswap_x2 v[8:9], v6, v[0:3], s[2:3] offset:24 sc0 sc1
	s_waitcnt vmcnt(0)
	v_cmp_eq_u64_e32 vcc, v[8:9], v[2:3]
	s_or_b64 s[0:1], vcc, s[0:1]
	v_mov_b64_e32 v[2:3], v[8:9]
	s_andn2_b64 exec, exec, s[0:1]
	s_cbranch_execnz .LBB1_247
.LBB1_248:
	s_or_b64 exec, exec, s[8:9]
                                        ; implicit-def: $vgpr32
	s_andn2_saveexec_b64 s[4:5], s[4:5]
	s_cbranch_execnz .LBB1_112
	s_branch .LBB1_272
.LBB1_249:
	s_cbranch_execz .LBB1_272
; %bb.250:
	v_readfirstlane_b32 s0, v32
	s_waitcnt vmcnt(0)
	v_mov_b64_e32 v[8:9], 0
	v_cmp_eq_u32_e64 s[0:1], s0, v32
	s_and_saveexec_b64 s[6:7], s[0:1]
	s_cbranch_execz .LBB1_256
; %bb.251:
	v_mov_b32_e32 v2, 0
	global_load_dwordx2 v[6:7], v2, s[2:3] offset:24 sc0 sc1
	s_waitcnt vmcnt(0)
	buffer_inv sc0 sc1
	global_load_dwordx2 v[4:5], v2, s[2:3] offset:40
	global_load_dwordx2 v[8:9], v2, s[2:3]
	s_waitcnt vmcnt(1)
	v_and_b32_e32 v3, v4, v6
	v_and_b32_e32 v4, v5, v7
	v_mul_lo_u32 v4, v4, 24
	v_mul_hi_u32 v5, v3, 24
	v_add_u32_e32 v5, v5, v4
	v_mul_lo_u32 v4, v3, 24
	s_waitcnt vmcnt(0)
	v_lshl_add_u64 v[4:5], v[8:9], 0, v[4:5]
	global_load_dwordx2 v[4:5], v[4:5], off sc0 sc1
	s_waitcnt vmcnt(0)
	global_atomic_cmpswap_x2 v[8:9], v2, v[4:7], s[2:3] offset:24 sc0 sc1
	s_waitcnt vmcnt(0)
	buffer_inv sc0 sc1
	v_cmp_ne_u64_e32 vcc, v[8:9], v[6:7]
	s_and_saveexec_b64 s[8:9], vcc
	s_cbranch_execz .LBB1_255
; %bb.252:
	s_mov_b64 s[10:11], 0
.LBB1_253:                              ; =>This Inner Loop Header: Depth=1
	s_sleep 1
	global_load_dwordx2 v[4:5], v2, s[2:3] offset:40
	global_load_dwordx2 v[10:11], v2, s[2:3]
	v_mov_b64_e32 v[6:7], v[8:9]
	s_waitcnt vmcnt(1)
	v_and_b32_e32 v4, v4, v6
	v_and_b32_e32 v3, v5, v7
	s_waitcnt vmcnt(0)
	v_mad_u64_u32 v[4:5], s[12:13], v4, 24, v[10:11]
	v_mov_b32_e32 v8, v5
	v_mad_u64_u32 v[8:9], s[12:13], v3, 24, v[8:9]
	v_mov_b32_e32 v5, v8
	global_load_dwordx2 v[4:5], v[4:5], off sc0 sc1
	s_waitcnt vmcnt(0)
	global_atomic_cmpswap_x2 v[8:9], v2, v[4:7], s[2:3] offset:24 sc0 sc1
	s_waitcnt vmcnt(0)
	buffer_inv sc0 sc1
	v_cmp_eq_u64_e32 vcc, v[8:9], v[6:7]
	s_or_b64 s[10:11], vcc, s[10:11]
	s_andn2_b64 exec, exec, s[10:11]
	s_cbranch_execnz .LBB1_253
; %bb.254:
	s_or_b64 exec, exec, s[10:11]
.LBB1_255:
	s_or_b64 exec, exec, s[8:9]
.LBB1_256:
	s_or_b64 exec, exec, s[6:7]
	v_mov_b32_e32 v2, 0
	global_load_dwordx2 v[10:11], v2, s[2:3] offset:40
	global_load_dwordx4 v[4:7], v2, s[2:3]
	v_readfirstlane_b32 s6, v8
	v_readfirstlane_b32 s7, v9
	s_mov_b64 s[8:9], exec
	s_waitcnt vmcnt(1)
	v_readfirstlane_b32 s10, v10
	v_readfirstlane_b32 s11, v11
	s_and_b64 s[10:11], s[6:7], s[10:11]
	s_mul_i32 s12, s11, 24
	s_mul_hi_u32 s13, s10, 24
	s_add_i32 s13, s13, s12
	s_mul_i32 s12, s10, 24
	s_waitcnt vmcnt(0)
	v_lshl_add_u64 v[8:9], v[4:5], 0, s[12:13]
	s_and_saveexec_b64 s[12:13], s[0:1]
	s_cbranch_execz .LBB1_258
; %bb.257:
	v_mov_b64_e32 v[10:11], s[8:9]
	v_mov_b32_e32 v12, 2
	v_mov_b32_e32 v13, 1
	global_store_dwordx4 v[8:9], v[10:13], off offset:8
.LBB1_258:
	s_or_b64 exec, exec, s[12:13]
	s_lshl_b64 s[8:9], s[10:11], 12
	v_lshl_add_u64 v[6:7], v[6:7], 0, s[8:9]
	s_movk_i32 s8, 0xff1d
	v_and_or_b32 v0, v0, s8, 34
	s_mov_b32 s8, 0
	v_mov_b32_e32 v3, v2
	v_readfirstlane_b32 s12, v6
	v_readfirstlane_b32 s13, v7
	s_mov_b32 s9, s8
	s_mov_b32 s10, s8
	;; [unrolled: 1-line block ×3, first 2 shown]
	s_nop 1
	global_store_dwordx4 v26, v[0:3], s[12:13]
	s_nop 1
	v_mov_b64_e32 v[0:1], s[8:9]
	v_mov_b64_e32 v[2:3], s[10:11]
	global_store_dwordx4 v26, v[0:3], s[12:13] offset:16
	global_store_dwordx4 v26, v[0:3], s[12:13] offset:32
	;; [unrolled: 1-line block ×3, first 2 shown]
	s_and_saveexec_b64 s[8:9], s[0:1]
	s_cbranch_execz .LBB1_266
; %bb.259:
	v_mov_b32_e32 v6, 0
	global_load_dwordx2 v[12:13], v6, s[2:3] offset:32 sc0 sc1
	global_load_dwordx2 v[0:1], v6, s[2:3] offset:40
	v_mov_b32_e32 v10, s6
	v_mov_b32_e32 v11, s7
	s_waitcnt vmcnt(0)
	v_readfirstlane_b32 s10, v0
	v_readfirstlane_b32 s11, v1
	s_and_b64 s[10:11], s[10:11], s[6:7]
	s_mul_i32 s11, s11, 24
	s_mul_hi_u32 s12, s10, 24
	s_mul_i32 s10, s10, 24
	s_add_i32 s11, s12, s11
	v_lshl_add_u64 v[4:5], v[4:5], 0, s[10:11]
	global_store_dwordx2 v[4:5], v[12:13], off
	buffer_wbl2 sc0 sc1
	s_waitcnt vmcnt(0)
	global_atomic_cmpswap_x2 v[2:3], v6, v[10:13], s[2:3] offset:32 sc0 sc1
	s_waitcnt vmcnt(0)
	v_cmp_ne_u64_e32 vcc, v[2:3], v[12:13]
	s_and_saveexec_b64 s[10:11], vcc
	s_cbranch_execz .LBB1_262
; %bb.260:
	s_mov_b64 s[12:13], 0
.LBB1_261:                              ; =>This Inner Loop Header: Depth=1
	s_sleep 1
	global_store_dwordx2 v[4:5], v[2:3], off
	v_mov_b32_e32 v0, s6
	v_mov_b32_e32 v1, s7
	buffer_wbl2 sc0 sc1
	s_waitcnt vmcnt(0)
	global_atomic_cmpswap_x2 v[0:1], v6, v[0:3], s[2:3] offset:32 sc0 sc1
	s_waitcnt vmcnt(0)
	v_cmp_eq_u64_e32 vcc, v[0:1], v[2:3]
	s_or_b64 s[12:13], vcc, s[12:13]
	v_mov_b64_e32 v[2:3], v[0:1]
	s_andn2_b64 exec, exec, s[12:13]
	s_cbranch_execnz .LBB1_261
.LBB1_262:
	s_or_b64 exec, exec, s[10:11]
	v_mov_b32_e32 v3, 0
	global_load_dwordx2 v[0:1], v3, s[2:3] offset:16
	s_mov_b64 s[10:11], exec
	v_mbcnt_lo_u32_b32 v2, s10, 0
	v_mbcnt_hi_u32_b32 v2, s11, v2
	v_cmp_eq_u32_e32 vcc, 0, v2
	s_and_saveexec_b64 s[12:13], vcc
	s_cbranch_execz .LBB1_264
; %bb.263:
	s_bcnt1_i32_b64 s10, s[10:11]
	v_mov_b32_e32 v2, s10
	buffer_wbl2 sc0 sc1
	s_waitcnt vmcnt(0)
	global_atomic_add_x2 v[0:1], v[2:3], off offset:8 sc1
.LBB1_264:
	s_or_b64 exec, exec, s[12:13]
	s_waitcnt vmcnt(0)
	global_load_dwordx2 v[2:3], v[0:1], off offset:16
	s_waitcnt vmcnt(0)
	v_cmp_eq_u64_e32 vcc, 0, v[2:3]
	s_cbranch_vccnz .LBB1_266
; %bb.265:
	global_load_dword v0, v[0:1], off offset:24
	v_mov_b32_e32 v1, 0
	buffer_wbl2 sc0 sc1
	s_waitcnt vmcnt(0)
	global_store_dwordx2 v[2:3], v[0:1], off sc0 sc1
	v_and_b32_e32 v0, 0xffffff, v0
	s_nop 0
	v_readfirstlane_b32 m0, v0
	s_sendmsg sendmsg(MSG_INTERRUPT)
.LBB1_266:
	s_or_b64 exec, exec, s[8:9]
	s_branch .LBB1_270
.LBB1_267:                              ;   in Loop: Header=BB1_270 Depth=1
	s_or_b64 exec, exec, s[8:9]
	v_readfirstlane_b32 s8, v0
	s_cmp_eq_u32 s8, 0
	s_cbranch_scc1 .LBB1_269
; %bb.268:                              ;   in Loop: Header=BB1_270 Depth=1
	s_sleep 1
	s_cbranch_execnz .LBB1_270
	s_branch .LBB1_273
.LBB1_269:
	s_branch .LBB1_273
.LBB1_270:                              ; =>This Inner Loop Header: Depth=1
	v_mov_b32_e32 v0, 1
	s_and_saveexec_b64 s[8:9], s[0:1]
	s_cbranch_execz .LBB1_267
; %bb.271:                              ;   in Loop: Header=BB1_270 Depth=1
	global_load_dword v0, v[8:9], off offset:20 sc0 sc1
	s_waitcnt vmcnt(0)
	buffer_inv sc0 sc1
	v_and_b32_e32 v0, 1, v0
	s_branch .LBB1_267
.LBB1_272:
	s_or_b64 exec, exec, s[4:5]
	s_waitcnt vmcnt(0) lgkmcnt(0)
	s_setpc_b64 s[30:31]
.LBB1_273:
	s_and_saveexec_b64 s[8:9], s[0:1]
	s_cbranch_execz .LBB1_276
; %bb.274:
	v_mov_b32_e32 v6, 0
	global_load_dwordx2 v[4:5], v6, s[2:3] offset:40
	global_load_dwordx2 v[8:9], v6, s[2:3] offset:24 sc0 sc1
	global_load_dwordx2 v[10:11], v6, s[2:3]
	s_mov_b64 s[0:1], 0
	s_waitcnt vmcnt(2)
	v_lshl_add_u64 v[0:1], v[4:5], 0, 1
	v_lshl_add_u64 v[12:13], v[0:1], 0, s[6:7]
	v_cmp_eq_u64_e32 vcc, 0, v[12:13]
	s_waitcnt vmcnt(1)
	v_mov_b32_e32 v2, v8
	v_cndmask_b32_e32 v1, v13, v1, vcc
	v_cndmask_b32_e32 v0, v12, v0, vcc
	v_and_b32_e32 v3, v1, v5
	v_and_b32_e32 v4, v0, v4
	v_mul_lo_u32 v3, v3, 24
	v_mul_hi_u32 v5, v4, 24
	v_mul_lo_u32 v4, v4, 24
	v_add_u32_e32 v5, v5, v3
	s_waitcnt vmcnt(0)
	v_lshl_add_u64 v[4:5], v[10:11], 0, v[4:5]
	global_store_dwordx2 v[4:5], v[8:9], off
	v_mov_b32_e32 v3, v9
	buffer_wbl2 sc0 sc1
	s_waitcnt vmcnt(0)
	global_atomic_cmpswap_x2 v[2:3], v6, v[0:3], s[2:3] offset:24 sc0 sc1
	s_waitcnt vmcnt(0)
	v_cmp_ne_u64_e32 vcc, v[2:3], v[8:9]
	s_and_b64 exec, exec, vcc
	s_cbranch_execz .LBB1_276
.LBB1_275:                              ; =>This Inner Loop Header: Depth=1
	s_sleep 1
	global_store_dwordx2 v[4:5], v[2:3], off
	buffer_wbl2 sc0 sc1
	s_waitcnt vmcnt(0)
	global_atomic_cmpswap_x2 v[8:9], v6, v[0:3], s[2:3] offset:24 sc0 sc1
	s_waitcnt vmcnt(0)
	v_cmp_eq_u64_e32 vcc, v[8:9], v[2:3]
	s_or_b64 s[0:1], vcc, s[0:1]
	v_mov_b64_e32 v[2:3], v[8:9]
	s_andn2_b64 exec, exec, s[0:1]
	s_cbranch_execnz .LBB1_275
.LBB1_276:
	s_or_b64 exec, exec, s[8:9]
	s_or_b64 exec, exec, s[4:5]
	s_waitcnt vmcnt(0) lgkmcnt(0)
	s_setpc_b64 s[30:31]
.Lfunc_end1:
	.size	_ZN8migraphx4testlsIKNS_13basic_printerIZNS_4coutEvEUlT_E_EEEERS3_S7_RKNS0_14lhs_expressionIbNS0_3nopEEE, .Lfunc_end1-_ZN8migraphx4testlsIKNS_13basic_printerIZNS_4coutEvEUlT_E_EEEERS3_S7_RKNS0_14lhs_expressionIbNS0_3nopEEE
                                        ; -- End function
	.section	.AMDGPU.csdata,"",@progbits
; Function info:
; codeLenInByte = 9240
; NumSgprs: 38
; NumVgprs: 33
; NumAgprs: 0
; TotalNumVgprs: 33
; ScratchSize: 0
; MemoryBound: 0
	.text
	.p2align	2                               ; -- Begin function _ZN8migraphx4test4failEv
	.type	_ZN8migraphx4test4failEv,@function
_ZN8migraphx4test4failEv:               ; @_ZN8migraphx4test4failEv
; %bb.0:
	s_waitcnt vmcnt(0) expcnt(0) lgkmcnt(0)
	v_mov_b32_e32 v0, 0
	global_load_dword v1, v0, s[8:9] offset:18
	global_load_ushort v2, v0, s[8:9] offset:22
	s_load_dwordx2 s[0:1], s[8:9], 0x0
	s_load_dword s2, s[8:9], 0x8
	s_waitcnt vmcnt(1)
	v_cmp_ne_u16_e32 vcc, 0, v1
	s_cmp_lg_u64 vcc, 0
	s_waitcnt lgkmcnt(0)
	s_addc_u32 s3, s0, 0
	s_waitcnt vmcnt(0)
	v_cmp_ne_u16_e32 vcc, 0, v2
	s_cmp_lg_u64 vcc, 0
	v_cmp_ne_u16_sdwa s[4:5], v1, v0 src0_sel:WORD_1 src1_sel:DWORD
	s_addc_u32 s6, s2, 0
	s_cmp_lg_u64 s[4:5], 0
	s_addc_u32 s4, s1, 0
	s_mul_i32 s3, s4, s3
	s_mul_i32 s3, s3, s6
	s_cmp_lg_u32 s3, 1
	s_cbranch_scc1 .LBB2_3
; %bb.1:
	s_cmp_lt_u32 s14, s2
	s_cselect_b32 s2, 16, 22
	s_add_u32 s2, s8, s2
	s_addc_u32 s3, s9, 0
	s_cmp_lt_u32 s13, s1
	s_cselect_b32 s1, 14, 20
	s_add_u32 s4, s8, s1
	s_addc_u32 s5, s9, 0
	;; [unrolled: 4-line block ×3, first 2 shown]
	global_load_ushort v1, v0, s[2:3]
	global_load_ushort v2, v0, s[4:5]
	;; [unrolled: 1-line block ×3, first 2 shown]
	s_waitcnt vmcnt(1)
	v_mul_lo_u32 v0, v2, v1
	s_waitcnt vmcnt(0)
	v_mul_lo_u32 v0, v0, v3
	v_cmp_lt_u32_e32 vcc, 64, v0
	s_cbranch_vccnz .LBB2_3
; %bb.2:
	s_endpgm
.LBB2_3:
	s_trap 2
.Lfunc_end2:
	.size	_ZN8migraphx4test4failEv, .Lfunc_end2-_ZN8migraphx4test4failEv
                                        ; -- End function
	.section	.AMDGPU.csdata,"",@progbits
; Function info:
; codeLenInByte = 220
; NumSgprs: 21
; NumVgprs: 4
; NumAgprs: 0
; TotalNumVgprs: 4
; ScratchSize: 0
; MemoryBound: 0
	.text
	.p2align	2                               ; -- Begin function _ZL22equal_custom_predicateRN8migraphx4test12test_managerE
	.type	_ZL22equal_custom_predicateRN8migraphx4test12test_managerE,@function
_ZL22equal_custom_predicateRN8migraphx4test12test_managerE: ; @_ZL22equal_custom_predicateRN8migraphx4test12test_managerE
; %bb.0:
	s_waitcnt vmcnt(0) expcnt(0) lgkmcnt(0)
	s_mov_b32 s0, s33
	s_mov_b32 s33, s32
	s_or_saveexec_b64 s[2:3], -1
	scratch_store_dword off, v40, s33 offset:24 ; 4-byte Folded Spill
	s_mov_b64 exec, s[2:3]
	v_writelane_b32 v40, s0, 2
	v_writelane_b32 v40, s30, 0
	s_add_i32 s32, s32, 32
	s_nop 0
	v_writelane_b32 v40, s31, 1
	v_mov_b32_e32 v39, v1
	v_mov_b32_e32 v38, v0
	v_mov_b32_e32 v0, 1
	v_mov_b32_e32 v1, 2
	v_mov_b32_e32 v2, 3
	scratch_store_dwordx3 off, v[0:2], s33
	v_mov_b32_e32 v3, 4
	v_mov_b32_e32 v4, 6
	;; [unrolled: 1-line block ×3, first 2 shown]
	s_mov_b32 s6, 0
	s_mov_b64 s[2:3], 0
	scratch_store_dwordx3 off, v[2:4], s33 offset:12
                                        ; implicit-def: $sgpr4_sgpr5
                                        ; implicit-def: $sgpr18_sgpr19
.LBB3_1:                                ; =>This Inner Loop Header: Depth=1
	s_add_i32 s1, s33, 12
	s_add_i32 s0, s6, s1
	;; [unrolled: 1-line block ×3, first 2 shown]
	scratch_load_dword v0, off, s1
	scratch_load_dword v1, off, s0
	s_add_i32 s0, s6, 4
	s_cmp_eq_u32 s6, 8
	s_mov_b32 s6, s0
	s_cselect_b64 s[10:11], -1, 0
	s_waitcnt vmcnt(1)
	v_lshlrev_b32_e32 v0, 1, v0
	s_waitcnt vmcnt(0)
	v_cmp_ne_u32_e64 s[0:1], v0, v1
	s_or_b64 s[10:11], s[0:1], s[10:11]
	s_and_b64 s[10:11], exec, s[10:11]
	v_cmp_eq_u32_e32 vcc, v0, v1
	s_or_b64 s[2:3], s[10:11], s[2:3]
	s_andn2_b64 s[10:11], s[18:19], exec
	s_and_b64 s[16:17], vcc, exec
	s_andn2_b64 s[4:5], s[4:5], exec
	s_and_b64 s[0:1], s[0:1], exec
	s_or_b64 s[18:19], s[10:11], s[16:17]
	s_or_b64 s[4:5], s[4:5], s[0:1]
	s_andn2_b64 exec, exec, s[2:3]
	s_cbranch_execnz .LBB3_1
; %bb.2:
	s_or_b64 exec, exec, s[2:3]
	s_and_saveexec_b64 s[0:1], s[4:5]
	s_xor_b64 s[22:23], exec, s[0:1]
	s_cbranch_execz .LBB3_1726
; %bb.3:
	v_and_b32_e32 v0, 0x3ff, v31
	v_cmp_eq_u32_e32 vcc, 0, v0
	s_and_saveexec_b64 s[24:25], vcc
	s_cbranch_execz .LBB3_1725
; %bb.4:
	s_load_dwordx2 s[26:27], s[8:9], 0x50
	v_mbcnt_lo_u32_b32 v0, -1, 0
	v_mbcnt_hi_u32_b32 v37, -1, v0
	v_mov_b64_e32 v[4:5], 0
	v_readfirstlane_b32 s0, v37
	s_nop 1
	v_cmp_eq_u32_e64 s[0:1], s0, v37
	s_and_saveexec_b64 s[2:3], s[0:1]
	s_cbranch_execz .LBB3_10
; %bb.5:
	v_mov_b32_e32 v0, 0
	s_waitcnt lgkmcnt(0)
	global_load_dwordx2 v[6:7], v0, s[26:27] offset:24 sc0 sc1
	s_waitcnt vmcnt(0)
	buffer_inv sc0 sc1
	global_load_dwordx2 v[2:3], v0, s[26:27] offset:40
	global_load_dwordx2 v[4:5], v0, s[26:27]
	s_waitcnt vmcnt(1)
	v_and_b32_e32 v1, v2, v6
	v_and_b32_e32 v2, v3, v7
	v_mul_lo_u32 v2, v2, 24
	v_mul_hi_u32 v3, v1, 24
	v_add_u32_e32 v3, v3, v2
	v_mul_lo_u32 v2, v1, 24
	s_waitcnt vmcnt(0)
	v_lshl_add_u64 v[2:3], v[4:5], 0, v[2:3]
	global_load_dwordx2 v[4:5], v[2:3], off sc0 sc1
	s_waitcnt vmcnt(0)
	global_atomic_cmpswap_x2 v[4:5], v0, v[4:7], s[26:27] offset:24 sc0 sc1
	s_waitcnt vmcnt(0)
	buffer_inv sc0 sc1
	v_cmp_ne_u64_e32 vcc, v[4:5], v[6:7]
	s_and_saveexec_b64 s[4:5], vcc
	s_cbranch_execz .LBB3_9
; %bb.6:
	s_mov_b64 s[6:7], 0
.LBB3_7:                                ; =>This Inner Loop Header: Depth=1
	s_sleep 1
	global_load_dwordx2 v[2:3], v0, s[26:27] offset:40
	global_load_dwordx2 v[8:9], v0, s[26:27]
	v_mov_b64_e32 v[6:7], v[4:5]
	s_waitcnt vmcnt(1)
	v_and_b32_e32 v2, v2, v6
	v_and_b32_e32 v1, v3, v7
	s_waitcnt vmcnt(0)
	v_mad_u64_u32 v[2:3], s[10:11], v2, 24, v[8:9]
	v_mov_b32_e32 v4, v3
	v_mad_u64_u32 v[4:5], s[10:11], v1, 24, v[4:5]
	v_mov_b32_e32 v3, v4
	global_load_dwordx2 v[4:5], v[2:3], off sc0 sc1
	s_waitcnt vmcnt(0)
	global_atomic_cmpswap_x2 v[4:5], v0, v[4:7], s[26:27] offset:24 sc0 sc1
	s_waitcnt vmcnt(0)
	buffer_inv sc0 sc1
	v_cmp_eq_u64_e32 vcc, v[4:5], v[6:7]
	s_or_b64 s[6:7], vcc, s[6:7]
	s_andn2_b64 exec, exec, s[6:7]
	s_cbranch_execnz .LBB3_7
; %bb.8:
	s_or_b64 exec, exec, s[6:7]
.LBB3_9:
	s_or_b64 exec, exec, s[4:5]
.LBB3_10:
	s_or_b64 exec, exec, s[2:3]
	v_mov_b32_e32 v49, 0
	s_waitcnt lgkmcnt(0)
	global_load_dwordx2 v[6:7], v49, s[26:27] offset:40
	global_load_dwordx4 v[0:3], v49, s[26:27]
	v_readfirstlane_b32 s2, v4
	v_readfirstlane_b32 s3, v5
	s_mov_b64 s[4:5], exec
	s_waitcnt vmcnt(1)
	v_readfirstlane_b32 s6, v6
	v_readfirstlane_b32 s7, v7
	s_and_b64 s[6:7], s[2:3], s[6:7]
	s_mul_i32 s10, s7, 24
	s_mul_hi_u32 s11, s6, 24
	s_add_i32 s11, s11, s10
	s_mul_i32 s10, s6, 24
	s_waitcnt vmcnt(0)
	v_lshl_add_u64 v[4:5], v[0:1], 0, s[10:11]
	s_and_saveexec_b64 s[10:11], s[0:1]
	s_cbranch_execz .LBB3_12
; %bb.11:
	v_mov_b64_e32 v[6:7], s[4:5]
	v_mov_b32_e32 v8, 2
	v_mov_b32_e32 v9, 1
	global_store_dwordx4 v[4:5], v[6:9], off offset:8
.LBB3_12:
	s_or_b64 exec, exec, s[10:11]
	s_lshl_b64 s[4:5], s[6:7], 12
	v_lshl_add_u64 v[6:7], v[2:3], 0, s[4:5]
	s_mov_b32 s4, 0
	v_lshlrev_b32_e32 v48, 6, v37
	v_mov_b32_e32 v8, 33
	v_mov_b32_e32 v9, v49
	v_mov_b32_e32 v10, v49
	v_mov_b32_e32 v11, v49
	v_readfirstlane_b32 s10, v6
	v_readfirstlane_b32 s11, v7
	s_mov_b32 s6, s4
	s_mov_b32 s7, s4
	;; [unrolled: 1-line block ×3, first 2 shown]
	s_nop 1
	global_store_dwordx4 v48, v[8:11], s[10:11]
	s_nop 1
	v_mov_b64_e32 v[10:11], s[6:7]
	v_mov_b64_e32 v[8:9], s[4:5]
	global_store_dwordx4 v48, v[8:11], s[10:11] offset:16
	global_store_dwordx4 v48, v[8:11], s[10:11] offset:32
	;; [unrolled: 1-line block ×3, first 2 shown]
	s_and_saveexec_b64 s[4:5], s[0:1]
	s_cbranch_execz .LBB3_20
; %bb.13:
	v_mov_b32_e32 v10, 0
	global_load_dwordx2 v[14:15], v10, s[26:27] offset:32 sc0 sc1
	global_load_dwordx2 v[2:3], v10, s[26:27] offset:40
	v_mov_b32_e32 v12, s2
	v_mov_b32_e32 v13, s3
	s_waitcnt vmcnt(0)
	v_and_b32_e32 v2, s2, v2
	v_and_b32_e32 v3, s3, v3
	v_mul_lo_u32 v3, v3, 24
	v_mul_hi_u32 v8, v2, 24
	v_mul_lo_u32 v2, v2, 24
	v_add_u32_e32 v3, v8, v3
	v_lshl_add_u64 v[8:9], v[0:1], 0, v[2:3]
	global_store_dwordx2 v[8:9], v[14:15], off
	buffer_wbl2 sc0 sc1
	s_waitcnt vmcnt(0)
	global_atomic_cmpswap_x2 v[2:3], v10, v[12:15], s[26:27] offset:32 sc0 sc1
	s_waitcnt vmcnt(0)
	v_cmp_ne_u64_e32 vcc, v[2:3], v[14:15]
	s_and_saveexec_b64 s[6:7], vcc
	s_cbranch_execz .LBB3_16
; %bb.14:
	s_mov_b64 s[10:11], 0
.LBB3_15:                               ; =>This Inner Loop Header: Depth=1
	s_sleep 1
	global_store_dwordx2 v[8:9], v[2:3], off
	v_mov_b32_e32 v0, s2
	v_mov_b32_e32 v1, s3
	buffer_wbl2 sc0 sc1
	s_waitcnt vmcnt(0)
	global_atomic_cmpswap_x2 v[0:1], v10, v[0:3], s[26:27] offset:32 sc0 sc1
	s_waitcnt vmcnt(0)
	v_cmp_eq_u64_e32 vcc, v[0:1], v[2:3]
	s_or_b64 s[10:11], vcc, s[10:11]
	v_mov_b64_e32 v[2:3], v[0:1]
	s_andn2_b64 exec, exec, s[10:11]
	s_cbranch_execnz .LBB3_15
.LBB3_16:
	s_or_b64 exec, exec, s[6:7]
	v_mov_b32_e32 v3, 0
	global_load_dwordx2 v[0:1], v3, s[26:27] offset:16
	s_mov_b64 s[6:7], exec
	v_mbcnt_lo_u32_b32 v2, s6, 0
	v_mbcnt_hi_u32_b32 v2, s7, v2
	v_cmp_eq_u32_e32 vcc, 0, v2
	s_and_saveexec_b64 s[10:11], vcc
	s_cbranch_execz .LBB3_18
; %bb.17:
	s_bcnt1_i32_b64 s6, s[6:7]
	v_mov_b32_e32 v2, s6
	buffer_wbl2 sc0 sc1
	s_waitcnt vmcnt(0)
	global_atomic_add_x2 v[0:1], v[2:3], off offset:8 sc1
.LBB3_18:
	s_or_b64 exec, exec, s[10:11]
	s_waitcnt vmcnt(0)
	global_load_dwordx2 v[2:3], v[0:1], off offset:16
	s_waitcnt vmcnt(0)
	v_cmp_eq_u64_e32 vcc, 0, v[2:3]
	s_cbranch_vccnz .LBB3_20
; %bb.19:
	global_load_dword v0, v[0:1], off offset:24
	v_mov_b32_e32 v1, 0
	buffer_wbl2 sc0 sc1
	s_waitcnt vmcnt(0)
	global_store_dwordx2 v[2:3], v[0:1], off sc0 sc1
	v_and_b32_e32 v0, 0xffffff, v0
	s_nop 0
	v_readfirstlane_b32 m0, v0
	s_sendmsg sendmsg(MSG_INTERRUPT)
.LBB3_20:
	s_or_b64 exec, exec, s[4:5]
	v_lshl_add_u64 v[0:1], v[6:7], 0, v[48:49]
	s_branch .LBB3_24
.LBB3_21:                               ;   in Loop: Header=BB3_24 Depth=1
	s_or_b64 exec, exec, s[4:5]
	v_readfirstlane_b32 s4, v2
	s_cmp_eq_u32 s4, 0
	s_cbranch_scc1 .LBB3_23
; %bb.22:                               ;   in Loop: Header=BB3_24 Depth=1
	s_sleep 1
	s_cbranch_execnz .LBB3_24
	s_branch .LBB3_26
.LBB3_23:
	s_branch .LBB3_26
.LBB3_24:                               ; =>This Inner Loop Header: Depth=1
	v_mov_b32_e32 v2, 1
	s_and_saveexec_b64 s[4:5], s[0:1]
	s_cbranch_execz .LBB3_21
; %bb.25:                               ;   in Loop: Header=BB3_24 Depth=1
	global_load_dword v2, v[4:5], off offset:20 sc0 sc1
	s_waitcnt vmcnt(0)
	buffer_inv sc0 sc1
	v_and_b32_e32 v2, 1, v2
	s_branch .LBB3_21
.LBB3_26:
	global_load_dwordx2 v[4:5], v[0:1], off
	s_and_saveexec_b64 s[4:5], s[0:1]
	s_cbranch_execz .LBB3_29
; %bb.27:
	v_mov_b32_e32 v8, 0
	global_load_dwordx2 v[6:7], v8, s[26:27] offset:40
	global_load_dwordx2 v[10:11], v8, s[26:27] offset:24 sc0 sc1
	global_load_dwordx2 v[12:13], v8, s[26:27]
	s_mov_b64 s[0:1], 0
	s_waitcnt vmcnt(2)
	v_lshl_add_u64 v[0:1], v[6:7], 0, 1
	v_lshl_add_u64 v[14:15], v[0:1], 0, s[2:3]
	v_cmp_eq_u64_e32 vcc, 0, v[14:15]
	s_waitcnt vmcnt(1)
	v_mov_b32_e32 v2, v10
	v_cndmask_b32_e32 v1, v15, v1, vcc
	v_cndmask_b32_e32 v0, v14, v0, vcc
	v_and_b32_e32 v3, v1, v7
	v_and_b32_e32 v6, v0, v6
	v_mul_lo_u32 v3, v3, 24
	v_mul_hi_u32 v7, v6, 24
	v_mul_lo_u32 v6, v6, 24
	v_add_u32_e32 v7, v7, v3
	s_waitcnt vmcnt(0)
	v_lshl_add_u64 v[6:7], v[12:13], 0, v[6:7]
	global_store_dwordx2 v[6:7], v[10:11], off
	v_mov_b32_e32 v3, v11
	buffer_wbl2 sc0 sc1
	s_waitcnt vmcnt(0)
	global_atomic_cmpswap_x2 v[2:3], v8, v[0:3], s[26:27] offset:24 sc0 sc1
	s_waitcnt vmcnt(0)
	v_cmp_ne_u64_e32 vcc, v[2:3], v[10:11]
	s_and_b64 exec, exec, vcc
	s_cbranch_execz .LBB3_29
.LBB3_28:                               ; =>This Inner Loop Header: Depth=1
	s_sleep 1
	global_store_dwordx2 v[6:7], v[2:3], off
	buffer_wbl2 sc0 sc1
	s_waitcnt vmcnt(0)
	global_atomic_cmpswap_x2 v[10:11], v8, v[0:3], s[26:27] offset:24 sc0 sc1
	s_waitcnt vmcnt(0)
	v_cmp_eq_u64_e32 vcc, v[10:11], v[2:3]
	s_or_b64 s[0:1], vcc, s[0:1]
	v_mov_b64_e32 v[2:3], v[10:11]
	s_andn2_b64 exec, exec, s[0:1]
	s_cbranch_execnz .LBB3_28
.LBB3_29:
	s_or_b64 exec, exec, s[4:5]
	s_getpc_b64 s[4:5]
	s_add_u32 s4, s4, .str.5@rel32@lo+4
	s_addc_u32 s5, s5, .str.5@rel32@hi+12
	s_cmp_lg_u64 s[4:5], 0
	s_cselect_b64 s[2:3], -1, 0
	s_and_b64 vcc, exec, s[2:3]
	s_cbranch_vccz .LBB3_114
; %bb.30:
	s_waitcnt vmcnt(0)
	v_and_b32_e32 v26, 2, v4
	v_mov_b32_e32 v29, 0
	v_and_b32_e32 v0, -3, v4
	v_mov_b32_e32 v1, v5
	s_mov_b64 s[6:7], 3
	v_mov_b32_e32 v8, 2
	v_mov_b32_e32 v9, 1
	s_branch .LBB3_32
.LBB3_31:                               ;   in Loop: Header=BB3_32 Depth=1
	s_or_b64 exec, exec, s[20:21]
	s_sub_u32 s6, s6, s10
	s_subb_u32 s7, s7, s11
	s_add_u32 s4, s4, s10
	s_addc_u32 s5, s5, s11
	s_cmp_lg_u64 s[6:7], 0
	s_cbranch_scc0 .LBB3_113
.LBB3_32:                               ; =>This Loop Header: Depth=1
                                        ;     Child Loop BB3_35 Depth 2
                                        ;     Child Loop BB3_42 Depth 2
	;; [unrolled: 1-line block ×11, first 2 shown]
	v_cmp_lt_u64_e64 s[0:1], s[6:7], 56
	s_and_b64 s[0:1], s[0:1], exec
	v_cmp_gt_u64_e64 s[0:1], s[6:7], 7
	s_cselect_b32 s11, s7, 0
	s_cselect_b32 s10, s6, 56
	s_and_b64 vcc, exec, s[0:1]
	s_cbranch_vccnz .LBB3_37
; %bb.33:                               ;   in Loop: Header=BB3_32 Depth=1
	s_mov_b64 s[0:1], 0
	s_cmp_eq_u64 s[6:7], 0
	s_waitcnt vmcnt(0)
	v_mov_b64_e32 v[2:3], 0
	s_cbranch_scc1 .LBB3_36
; %bb.34:                               ;   in Loop: Header=BB3_32 Depth=1
	s_lshl_b64 s[16:17], s[10:11], 3
	s_mov_b64 s[20:21], 0
	v_mov_b64_e32 v[2:3], 0
	s_mov_b64 s[28:29], s[4:5]
.LBB3_35:                               ;   Parent Loop BB3_32 Depth=1
                                        ; =>  This Inner Loop Header: Depth=2
	global_load_ubyte v6, v29, s[28:29]
	s_waitcnt vmcnt(0)
	v_and_b32_e32 v28, 0xffff, v6
	v_lshlrev_b64 v[6:7], s20, v[28:29]
	s_add_u32 s20, s20, 8
	s_addc_u32 s21, s21, 0
	s_add_u32 s28, s28, 1
	s_addc_u32 s29, s29, 0
	v_or_b32_e32 v2, v6, v2
	s_cmp_lg_u32 s16, s20
	v_or_b32_e32 v3, v7, v3
	s_cbranch_scc1 .LBB3_35
.LBB3_36:                               ;   in Loop: Header=BB3_32 Depth=1
	s_mov_b32 s15, 0
	s_andn2_b64 vcc, exec, s[0:1]
	s_mov_b64 s[0:1], s[4:5]
	s_cbranch_vccz .LBB3_38
	s_branch .LBB3_39
.LBB3_37:                               ;   in Loop: Header=BB3_32 Depth=1
                                        ; implicit-def: $vgpr2_vgpr3
                                        ; implicit-def: $sgpr15
	s_mov_b64 s[0:1], s[4:5]
.LBB3_38:                               ;   in Loop: Header=BB3_32 Depth=1
	global_load_dwordx2 v[2:3], v29, s[4:5]
	s_add_i32 s15, s10, -8
	s_add_u32 s0, s4, 8
	s_addc_u32 s1, s5, 0
.LBB3_39:                               ;   in Loop: Header=BB3_32 Depth=1
	s_cmp_gt_u32 s15, 7
	s_cbranch_scc1 .LBB3_43
; %bb.40:                               ;   in Loop: Header=BB3_32 Depth=1
	s_cmp_eq_u32 s15, 0
	s_cbranch_scc1 .LBB3_44
; %bb.41:                               ;   in Loop: Header=BB3_32 Depth=1
	s_mov_b64 s[16:17], 0
	v_mov_b64_e32 v[10:11], 0
	s_mov_b64 s[20:21], 0
.LBB3_42:                               ;   Parent Loop BB3_32 Depth=1
                                        ; =>  This Inner Loop Header: Depth=2
	s_add_u32 s28, s0, s20
	s_addc_u32 s29, s1, s21
	global_load_ubyte v6, v29, s[28:29]
	s_add_u32 s20, s20, 1
	s_addc_u32 s21, s21, 0
	s_waitcnt vmcnt(0)
	v_and_b32_e32 v28, 0xffff, v6
	v_lshlrev_b64 v[6:7], s16, v[28:29]
	s_add_u32 s16, s16, 8
	s_addc_u32 s17, s17, 0
	v_or_b32_e32 v10, v6, v10
	s_cmp_lg_u32 s15, s20
	v_or_b32_e32 v11, v7, v11
	s_cbranch_scc1 .LBB3_42
	s_branch .LBB3_45
.LBB3_43:                               ;   in Loop: Header=BB3_32 Depth=1
                                        ; implicit-def: $vgpr10_vgpr11
                                        ; implicit-def: $sgpr28
	s_branch .LBB3_46
.LBB3_44:                               ;   in Loop: Header=BB3_32 Depth=1
	v_mov_b64_e32 v[10:11], 0
.LBB3_45:                               ;   in Loop: Header=BB3_32 Depth=1
	s_mov_b32 s28, 0
	s_cbranch_execnz .LBB3_47
.LBB3_46:                               ;   in Loop: Header=BB3_32 Depth=1
	global_load_dwordx2 v[10:11], v29, s[0:1]
	s_add_i32 s28, s15, -8
	s_add_u32 s0, s0, 8
	s_addc_u32 s1, s1, 0
.LBB3_47:                               ;   in Loop: Header=BB3_32 Depth=1
	s_cmp_gt_u32 s28, 7
	s_cbranch_scc1 .LBB3_51
; %bb.48:                               ;   in Loop: Header=BB3_32 Depth=1
	s_cmp_eq_u32 s28, 0
	s_cbranch_scc1 .LBB3_52
; %bb.49:                               ;   in Loop: Header=BB3_32 Depth=1
	s_mov_b64 s[16:17], 0
	v_mov_b64_e32 v[12:13], 0
	s_mov_b64 s[20:21], 0
.LBB3_50:                               ;   Parent Loop BB3_32 Depth=1
                                        ; =>  This Inner Loop Header: Depth=2
	s_add_u32 vcc_lo, s0, s20
	s_addc_u32 vcc_hi, s1, s21
	global_load_ubyte v6, v29, vcc
	s_add_u32 s20, s20, 1
	s_addc_u32 s21, s21, 0
	s_waitcnt vmcnt(0)
	v_and_b32_e32 v28, 0xffff, v6
	v_lshlrev_b64 v[6:7], s16, v[28:29]
	s_add_u32 s16, s16, 8
	s_addc_u32 s17, s17, 0
	v_or_b32_e32 v12, v6, v12
	s_cmp_lg_u32 s28, s20
	v_or_b32_e32 v13, v7, v13
	s_cbranch_scc1 .LBB3_50
	s_branch .LBB3_53
.LBB3_51:                               ;   in Loop: Header=BB3_32 Depth=1
                                        ; implicit-def: $sgpr15
	s_branch .LBB3_54
.LBB3_52:                               ;   in Loop: Header=BB3_32 Depth=1
	v_mov_b64_e32 v[12:13], 0
.LBB3_53:                               ;   in Loop: Header=BB3_32 Depth=1
	s_mov_b32 s15, 0
	s_cbranch_execnz .LBB3_55
.LBB3_54:                               ;   in Loop: Header=BB3_32 Depth=1
	global_load_dwordx2 v[12:13], v29, s[0:1]
	s_add_i32 s15, s28, -8
	s_add_u32 s0, s0, 8
	s_addc_u32 s1, s1, 0
.LBB3_55:                               ;   in Loop: Header=BB3_32 Depth=1
	s_cmp_gt_u32 s15, 7
	s_cbranch_scc1 .LBB3_59
; %bb.56:                               ;   in Loop: Header=BB3_32 Depth=1
	s_cmp_eq_u32 s15, 0
	s_cbranch_scc1 .LBB3_60
; %bb.57:                               ;   in Loop: Header=BB3_32 Depth=1
	s_mov_b64 s[16:17], 0
	v_mov_b64_e32 v[14:15], 0
	s_mov_b64 s[20:21], 0
.LBB3_58:                               ;   Parent Loop BB3_32 Depth=1
                                        ; =>  This Inner Loop Header: Depth=2
	s_add_u32 s28, s0, s20
	s_addc_u32 s29, s1, s21
	global_load_ubyte v6, v29, s[28:29]
	s_add_u32 s20, s20, 1
	s_addc_u32 s21, s21, 0
	s_waitcnt vmcnt(0)
	v_and_b32_e32 v28, 0xffff, v6
	v_lshlrev_b64 v[6:7], s16, v[28:29]
	s_add_u32 s16, s16, 8
	s_addc_u32 s17, s17, 0
	v_or_b32_e32 v14, v6, v14
	s_cmp_lg_u32 s15, s20
	v_or_b32_e32 v15, v7, v15
	s_cbranch_scc1 .LBB3_58
	s_branch .LBB3_61
.LBB3_59:                               ;   in Loop: Header=BB3_32 Depth=1
                                        ; implicit-def: $vgpr14_vgpr15
                                        ; implicit-def: $sgpr28
	s_branch .LBB3_62
.LBB3_60:                               ;   in Loop: Header=BB3_32 Depth=1
	v_mov_b64_e32 v[14:15], 0
.LBB3_61:                               ;   in Loop: Header=BB3_32 Depth=1
	s_mov_b32 s28, 0
	s_cbranch_execnz .LBB3_63
.LBB3_62:                               ;   in Loop: Header=BB3_32 Depth=1
	global_load_dwordx2 v[14:15], v29, s[0:1]
	s_add_i32 s28, s15, -8
	s_add_u32 s0, s0, 8
	s_addc_u32 s1, s1, 0
.LBB3_63:                               ;   in Loop: Header=BB3_32 Depth=1
	s_cmp_gt_u32 s28, 7
	s_cbranch_scc1 .LBB3_67
; %bb.64:                               ;   in Loop: Header=BB3_32 Depth=1
	s_cmp_eq_u32 s28, 0
	s_cbranch_scc1 .LBB3_68
; %bb.65:                               ;   in Loop: Header=BB3_32 Depth=1
	s_mov_b64 s[16:17], 0
	v_mov_b64_e32 v[16:17], 0
	s_mov_b64 s[20:21], 0
.LBB3_66:                               ;   Parent Loop BB3_32 Depth=1
                                        ; =>  This Inner Loop Header: Depth=2
	s_add_u32 vcc_lo, s0, s20
	s_addc_u32 vcc_hi, s1, s21
	global_load_ubyte v6, v29, vcc
	s_add_u32 s20, s20, 1
	s_addc_u32 s21, s21, 0
	s_waitcnt vmcnt(0)
	v_and_b32_e32 v28, 0xffff, v6
	v_lshlrev_b64 v[6:7], s16, v[28:29]
	s_add_u32 s16, s16, 8
	s_addc_u32 s17, s17, 0
	v_or_b32_e32 v16, v6, v16
	s_cmp_lg_u32 s28, s20
	v_or_b32_e32 v17, v7, v17
	s_cbranch_scc1 .LBB3_66
	s_branch .LBB3_69
.LBB3_67:                               ;   in Loop: Header=BB3_32 Depth=1
                                        ; implicit-def: $sgpr15
	s_branch .LBB3_70
.LBB3_68:                               ;   in Loop: Header=BB3_32 Depth=1
	v_mov_b64_e32 v[16:17], 0
.LBB3_69:                               ;   in Loop: Header=BB3_32 Depth=1
	s_mov_b32 s15, 0
	s_cbranch_execnz .LBB3_71
.LBB3_70:                               ;   in Loop: Header=BB3_32 Depth=1
	global_load_dwordx2 v[16:17], v29, s[0:1]
	s_add_i32 s15, s28, -8
	s_add_u32 s0, s0, 8
	s_addc_u32 s1, s1, 0
.LBB3_71:                               ;   in Loop: Header=BB3_32 Depth=1
	s_cmp_gt_u32 s15, 7
	s_cbranch_scc1 .LBB3_75
; %bb.72:                               ;   in Loop: Header=BB3_32 Depth=1
	s_cmp_eq_u32 s15, 0
	s_cbranch_scc1 .LBB3_76
; %bb.73:                               ;   in Loop: Header=BB3_32 Depth=1
	s_mov_b64 s[16:17], 0
	v_mov_b64_e32 v[18:19], 0
	s_mov_b64 s[20:21], 0
.LBB3_74:                               ;   Parent Loop BB3_32 Depth=1
                                        ; =>  This Inner Loop Header: Depth=2
	s_add_u32 s28, s0, s20
	s_addc_u32 s29, s1, s21
	global_load_ubyte v6, v29, s[28:29]
	s_add_u32 s20, s20, 1
	s_addc_u32 s21, s21, 0
	s_waitcnt vmcnt(0)
	v_and_b32_e32 v28, 0xffff, v6
	v_lshlrev_b64 v[6:7], s16, v[28:29]
	s_add_u32 s16, s16, 8
	s_addc_u32 s17, s17, 0
	v_or_b32_e32 v18, v6, v18
	s_cmp_lg_u32 s15, s20
	v_or_b32_e32 v19, v7, v19
	s_cbranch_scc1 .LBB3_74
	s_branch .LBB3_77
.LBB3_75:                               ;   in Loop: Header=BB3_32 Depth=1
                                        ; implicit-def: $vgpr18_vgpr19
                                        ; implicit-def: $sgpr28
	s_branch .LBB3_78
.LBB3_76:                               ;   in Loop: Header=BB3_32 Depth=1
	v_mov_b64_e32 v[18:19], 0
.LBB3_77:                               ;   in Loop: Header=BB3_32 Depth=1
	s_mov_b32 s28, 0
	s_cbranch_execnz .LBB3_79
.LBB3_78:                               ;   in Loop: Header=BB3_32 Depth=1
	global_load_dwordx2 v[18:19], v29, s[0:1]
	s_add_i32 s28, s15, -8
	s_add_u32 s0, s0, 8
	s_addc_u32 s1, s1, 0
.LBB3_79:                               ;   in Loop: Header=BB3_32 Depth=1
	s_cmp_gt_u32 s28, 7
	s_cbranch_scc1 .LBB3_83
; %bb.80:                               ;   in Loop: Header=BB3_32 Depth=1
	s_cmp_eq_u32 s28, 0
	s_cbranch_scc1 .LBB3_84
; %bb.81:                               ;   in Loop: Header=BB3_32 Depth=1
	s_mov_b64 s[16:17], 0
	v_mov_b64_e32 v[20:21], 0
	s_mov_b64 s[20:21], s[0:1]
.LBB3_82:                               ;   Parent Loop BB3_32 Depth=1
                                        ; =>  This Inner Loop Header: Depth=2
	global_load_ubyte v6, v29, s[20:21]
	s_add_i32 s28, s28, -1
	s_waitcnt vmcnt(0)
	v_and_b32_e32 v28, 0xffff, v6
	v_lshlrev_b64 v[6:7], s16, v[28:29]
	s_add_u32 s16, s16, 8
	s_addc_u32 s17, s17, 0
	s_add_u32 s20, s20, 1
	s_addc_u32 s21, s21, 0
	v_or_b32_e32 v20, v6, v20
	s_cmp_lg_u32 s28, 0
	v_or_b32_e32 v21, v7, v21
	s_cbranch_scc1 .LBB3_82
	s_branch .LBB3_85
.LBB3_83:                               ;   in Loop: Header=BB3_32 Depth=1
	s_branch .LBB3_86
.LBB3_84:                               ;   in Loop: Header=BB3_32 Depth=1
	v_mov_b64_e32 v[20:21], 0
.LBB3_85:                               ;   in Loop: Header=BB3_32 Depth=1
	s_cbranch_execnz .LBB3_87
.LBB3_86:                               ;   in Loop: Header=BB3_32 Depth=1
	global_load_dwordx2 v[20:21], v29, s[0:1]
.LBB3_87:                               ;   in Loop: Header=BB3_32 Depth=1
	v_readfirstlane_b32 s0, v37
	v_mov_b64_e32 v[6:7], 0
	s_nop 0
	v_cmp_eq_u32_e64 s[0:1], s0, v37
	s_and_saveexec_b64 s[16:17], s[0:1]
	s_cbranch_execz .LBB3_93
; %bb.88:                               ;   in Loop: Header=BB3_32 Depth=1
	global_load_dwordx2 v[24:25], v29, s[26:27] offset:24 sc0 sc1
	s_waitcnt vmcnt(0)
	buffer_inv sc0 sc1
	global_load_dwordx2 v[6:7], v29, s[26:27] offset:40
	global_load_dwordx2 v[22:23], v29, s[26:27]
	s_waitcnt vmcnt(1)
	v_and_b32_e32 v6, v6, v24
	v_and_b32_e32 v7, v7, v25
	v_mul_lo_u32 v7, v7, 24
	v_mul_hi_u32 v27, v6, 24
	v_add_u32_e32 v7, v27, v7
	v_mul_lo_u32 v6, v6, 24
	s_waitcnt vmcnt(0)
	v_lshl_add_u64 v[6:7], v[22:23], 0, v[6:7]
	global_load_dwordx2 v[22:23], v[6:7], off sc0 sc1
	s_waitcnt vmcnt(0)
	global_atomic_cmpswap_x2 v[6:7], v29, v[22:25], s[26:27] offset:24 sc0 sc1
	s_waitcnt vmcnt(0)
	buffer_inv sc0 sc1
	v_cmp_ne_u64_e32 vcc, v[6:7], v[24:25]
	s_and_saveexec_b64 s[20:21], vcc
	s_cbranch_execz .LBB3_92
; %bb.89:                               ;   in Loop: Header=BB3_32 Depth=1
	s_mov_b64 s[28:29], 0
.LBB3_90:                               ;   Parent Loop BB3_32 Depth=1
                                        ; =>  This Inner Loop Header: Depth=2
	s_sleep 1
	global_load_dwordx2 v[22:23], v29, s[26:27] offset:40
	global_load_dwordx2 v[30:31], v29, s[26:27]
	v_mov_b64_e32 v[24:25], v[6:7]
	s_waitcnt vmcnt(1)
	v_and_b32_e32 v6, v22, v24
	s_waitcnt vmcnt(0)
	v_mad_u64_u32 v[6:7], vcc, v6, 24, v[30:31]
	v_and_b32_e32 v23, v23, v25
	v_mov_b32_e32 v22, v7
	v_mad_u64_u32 v[22:23], vcc, v23, 24, v[22:23]
	v_mov_b32_e32 v7, v22
	global_load_dwordx2 v[22:23], v[6:7], off sc0 sc1
	s_waitcnt vmcnt(0)
	global_atomic_cmpswap_x2 v[6:7], v29, v[22:25], s[26:27] offset:24 sc0 sc1
	s_waitcnt vmcnt(0)
	buffer_inv sc0 sc1
	v_cmp_eq_u64_e32 vcc, v[6:7], v[24:25]
	s_or_b64 s[28:29], vcc, s[28:29]
	s_andn2_b64 exec, exec, s[28:29]
	s_cbranch_execnz .LBB3_90
; %bb.91:                               ;   in Loop: Header=BB3_32 Depth=1
	s_or_b64 exec, exec, s[28:29]
.LBB3_92:                               ;   in Loop: Header=BB3_32 Depth=1
	s_or_b64 exec, exec, s[20:21]
.LBB3_93:                               ;   in Loop: Header=BB3_32 Depth=1
	s_or_b64 exec, exec, s[16:17]
	global_load_dwordx2 v[30:31], v29, s[26:27] offset:40
	global_load_dwordx4 v[22:25], v29, s[26:27]
	v_readfirstlane_b32 s16, v6
	v_readfirstlane_b32 s17, v7
	s_mov_b64 s[20:21], exec
	s_waitcnt vmcnt(1)
	v_readfirstlane_b32 s28, v30
	v_readfirstlane_b32 s29, v31
	s_and_b64 s[28:29], s[16:17], s[28:29]
	s_mul_i32 s15, s29, 24
	s_mul_hi_u32 vcc_lo, s28, 24
	s_add_i32 vcc_hi, vcc_lo, s15
	s_mul_i32 vcc_lo, s28, 24
	s_waitcnt vmcnt(0)
	v_lshl_add_u64 v[30:31], v[22:23], 0, vcc
	s_and_saveexec_b64 vcc, s[0:1]
	s_cbranch_execz .LBB3_95
; %bb.94:                               ;   in Loop: Header=BB3_32 Depth=1
	v_mov_b64_e32 v[6:7], s[20:21]
	global_store_dwordx4 v[30:31], v[6:9], off offset:8
.LBB3_95:                               ;   in Loop: Header=BB3_32 Depth=1
	s_or_b64 exec, exec, vcc
	s_lshl_b64 s[20:21], s[28:29], 12
	v_lshl_add_u64 v[6:7], v[24:25], 0, s[20:21]
	v_or_b32_e32 v25, v0, v26
	v_cmp_gt_u64_e64 vcc, s[6:7], 56
	s_lshl_b32 s15, s10, 2
	s_add_i32 s15, s15, 28
	v_cndmask_b32_e32 v0, v25, v0, vcc
	v_or_b32_e32 v24, 0, v1
	s_and_b32 s15, s15, 0x1e0
	v_and_b32_e32 v0, 0xffffff1f, v0
	v_cndmask_b32_e32 v1, v24, v1, vcc
	v_or_b32_e32 v0, s15, v0
	v_readfirstlane_b32 s20, v6
	v_readfirstlane_b32 s21, v7
	s_nop 4
	global_store_dwordx4 v48, v[0:3], s[20:21]
	global_store_dwordx4 v48, v[10:13], s[20:21] offset:16
	global_store_dwordx4 v48, v[14:17], s[20:21] offset:32
	;; [unrolled: 1-line block ×3, first 2 shown]
	s_and_saveexec_b64 s[20:21], s[0:1]
	s_cbranch_execz .LBB3_103
; %bb.96:                               ;   in Loop: Header=BB3_32 Depth=1
	global_load_dwordx2 v[14:15], v29, s[26:27] offset:32 sc0 sc1
	global_load_dwordx2 v[0:1], v29, s[26:27] offset:40
	v_mov_b32_e32 v12, s16
	v_mov_b32_e32 v13, s17
	s_waitcnt vmcnt(0)
	v_readfirstlane_b32 s28, v0
	v_readfirstlane_b32 s29, v1
	s_and_b64 s[28:29], s[28:29], s[16:17]
	s_mul_i32 s15, s29, 24
	s_mul_hi_u32 s29, s28, 24
	s_mul_i32 s28, s28, 24
	s_add_i32 s29, s29, s15
	v_lshl_add_u64 v[10:11], v[22:23], 0, s[28:29]
	global_store_dwordx2 v[10:11], v[14:15], off
	buffer_wbl2 sc0 sc1
	s_waitcnt vmcnt(0)
	global_atomic_cmpswap_x2 v[2:3], v29, v[12:15], s[26:27] offset:32 sc0 sc1
	s_waitcnt vmcnt(0)
	v_cmp_ne_u64_e32 vcc, v[2:3], v[14:15]
	s_and_saveexec_b64 s[28:29], vcc
	s_cbranch_execz .LBB3_99
; %bb.97:                               ;   in Loop: Header=BB3_32 Depth=1
	s_mov_b64 s[30:31], 0
.LBB3_98:                               ;   Parent Loop BB3_32 Depth=1
                                        ; =>  This Inner Loop Header: Depth=2
	s_sleep 1
	global_store_dwordx2 v[10:11], v[2:3], off
	v_mov_b32_e32 v0, s16
	v_mov_b32_e32 v1, s17
	buffer_wbl2 sc0 sc1
	s_waitcnt vmcnt(0)
	global_atomic_cmpswap_x2 v[0:1], v29, v[0:3], s[26:27] offset:32 sc0 sc1
	s_waitcnt vmcnt(0)
	v_cmp_eq_u64_e32 vcc, v[0:1], v[2:3]
	s_or_b64 s[30:31], vcc, s[30:31]
	v_mov_b64_e32 v[2:3], v[0:1]
	s_andn2_b64 exec, exec, s[30:31]
	s_cbranch_execnz .LBB3_98
.LBB3_99:                               ;   in Loop: Header=BB3_32 Depth=1
	s_or_b64 exec, exec, s[28:29]
	global_load_dwordx2 v[0:1], v29, s[26:27] offset:16
	s_mov_b64 s[30:31], exec
	v_mbcnt_lo_u32_b32 v2, s30, 0
	v_mbcnt_hi_u32_b32 v2, s31, v2
	v_cmp_eq_u32_e32 vcc, 0, v2
	s_and_saveexec_b64 s[28:29], vcc
	s_cbranch_execz .LBB3_101
; %bb.100:                              ;   in Loop: Header=BB3_32 Depth=1
	s_bcnt1_i32_b64 s15, s[30:31]
	v_mov_b32_e32 v28, s15
	buffer_wbl2 sc0 sc1
	s_waitcnt vmcnt(0)
	global_atomic_add_x2 v[0:1], v[28:29], off offset:8 sc1
.LBB3_101:                              ;   in Loop: Header=BB3_32 Depth=1
	s_or_b64 exec, exec, s[28:29]
	s_waitcnt vmcnt(0)
	global_load_dwordx2 v[2:3], v[0:1], off offset:16
	s_waitcnt vmcnt(0)
	v_cmp_eq_u64_e32 vcc, 0, v[2:3]
	s_cbranch_vccnz .LBB3_103
; %bb.102:                              ;   in Loop: Header=BB3_32 Depth=1
	global_load_dword v28, v[0:1], off offset:24
	s_waitcnt vmcnt(0)
	v_and_b32_e32 v0, 0xffffff, v28
	s_nop 0
	v_readfirstlane_b32 m0, v0
	buffer_wbl2 sc0 sc1
	global_store_dwordx2 v[2:3], v[28:29], off sc0 sc1
	s_sendmsg sendmsg(MSG_INTERRUPT)
.LBB3_103:                              ;   in Loop: Header=BB3_32 Depth=1
	s_or_b64 exec, exec, s[20:21]
	v_mov_b32_e32 v49, v29
	v_lshl_add_u64 v[0:1], v[6:7], 0, v[48:49]
	s_branch .LBB3_107
.LBB3_104:                              ;   in Loop: Header=BB3_107 Depth=2
	s_or_b64 exec, exec, s[20:21]
	v_readfirstlane_b32 s15, v2
	s_cmp_eq_u32 s15, 0
	s_cbranch_scc1 .LBB3_106
; %bb.105:                              ;   in Loop: Header=BB3_107 Depth=2
	s_sleep 1
	s_cbranch_execnz .LBB3_107
	s_branch .LBB3_109
.LBB3_106:                              ;   in Loop: Header=BB3_32 Depth=1
	s_branch .LBB3_109
.LBB3_107:                              ;   Parent Loop BB3_32 Depth=1
                                        ; =>  This Inner Loop Header: Depth=2
	v_mov_b32_e32 v2, 1
	s_and_saveexec_b64 s[20:21], s[0:1]
	s_cbranch_execz .LBB3_104
; %bb.108:                              ;   in Loop: Header=BB3_107 Depth=2
	global_load_dword v2, v[30:31], off offset:20 sc0 sc1
	s_waitcnt vmcnt(0)
	buffer_inv sc0 sc1
	v_and_b32_e32 v2, 1, v2
	s_branch .LBB3_104
.LBB3_109:                              ;   in Loop: Header=BB3_32 Depth=1
	global_load_dwordx4 v[0:3], v[0:1], off
	s_and_saveexec_b64 s[20:21], s[0:1]
	s_cbranch_execz .LBB3_31
; %bb.110:                              ;   in Loop: Header=BB3_32 Depth=1
	global_load_dwordx2 v[2:3], v29, s[26:27] offset:40
	global_load_dwordx2 v[6:7], v29, s[26:27] offset:24 sc0 sc1
	global_load_dwordx2 v[14:15], v29, s[26:27]
	s_waitcnt vmcnt(2)
	v_lshl_add_u64 v[10:11], v[2:3], 0, 1
	v_lshl_add_u64 v[16:17], v[10:11], 0, s[16:17]
	v_cmp_eq_u64_e32 vcc, 0, v[16:17]
	s_waitcnt vmcnt(1)
	v_mov_b32_e32 v12, v6
	v_cndmask_b32_e32 v11, v17, v11, vcc
	v_cndmask_b32_e32 v10, v16, v10, vcc
	v_and_b32_e32 v3, v11, v3
	v_and_b32_e32 v2, v10, v2
	v_mul_lo_u32 v3, v3, 24
	v_mul_hi_u32 v13, v2, 24
	v_mul_lo_u32 v2, v2, 24
	v_add_u32_e32 v3, v13, v3
	s_waitcnt vmcnt(0)
	v_lshl_add_u64 v[2:3], v[14:15], 0, v[2:3]
	global_store_dwordx2 v[2:3], v[6:7], off
	v_mov_b32_e32 v13, v7
	buffer_wbl2 sc0 sc1
	s_waitcnt vmcnt(0)
	global_atomic_cmpswap_x2 v[12:13], v29, v[10:13], s[26:27] offset:24 sc0 sc1
	s_waitcnt vmcnt(0)
	v_cmp_ne_u64_e32 vcc, v[12:13], v[6:7]
	s_and_b64 exec, exec, vcc
	s_cbranch_execz .LBB3_31
; %bb.111:                              ;   in Loop: Header=BB3_32 Depth=1
	s_mov_b64 s[0:1], 0
.LBB3_112:                              ;   Parent Loop BB3_32 Depth=1
                                        ; =>  This Inner Loop Header: Depth=2
	s_sleep 1
	global_store_dwordx2 v[2:3], v[12:13], off
	buffer_wbl2 sc0 sc1
	s_waitcnt vmcnt(0)
	global_atomic_cmpswap_x2 v[6:7], v29, v[10:13], s[26:27] offset:24 sc0 sc1
	s_waitcnt vmcnt(0)
	v_cmp_eq_u64_e32 vcc, v[6:7], v[12:13]
	s_or_b64 s[0:1], vcc, s[0:1]
	v_mov_b64_e32 v[12:13], v[6:7]
	s_andn2_b64 exec, exec, s[0:1]
	s_cbranch_execnz .LBB3_112
	s_branch .LBB3_31
.LBB3_113:
	s_branch .LBB3_141
.LBB3_114:
                                        ; implicit-def: $vgpr0_vgpr1
	s_cbranch_execz .LBB3_141
; %bb.115:
	v_readfirstlane_b32 s0, v37
	v_mov_b64_e32 v[6:7], 0
	s_nop 0
	v_cmp_eq_u32_e64 s[0:1], s0, v37
	s_and_saveexec_b64 s[4:5], s[0:1]
	s_cbranch_execz .LBB3_121
; %bb.116:
	s_waitcnt vmcnt(0)
	v_mov_b32_e32 v0, 0
	global_load_dwordx2 v[8:9], v0, s[26:27] offset:24 sc0 sc1
	s_waitcnt vmcnt(0)
	buffer_inv sc0 sc1
	global_load_dwordx2 v[2:3], v0, s[26:27] offset:40
	global_load_dwordx2 v[6:7], v0, s[26:27]
	s_waitcnt vmcnt(1)
	v_and_b32_e32 v1, v2, v8
	v_and_b32_e32 v2, v3, v9
	v_mul_lo_u32 v2, v2, 24
	v_mul_hi_u32 v3, v1, 24
	v_add_u32_e32 v3, v3, v2
	v_mul_lo_u32 v2, v1, 24
	s_waitcnt vmcnt(0)
	v_lshl_add_u64 v[2:3], v[6:7], 0, v[2:3]
	global_load_dwordx2 v[6:7], v[2:3], off sc0 sc1
	s_waitcnt vmcnt(0)
	global_atomic_cmpswap_x2 v[6:7], v0, v[6:9], s[26:27] offset:24 sc0 sc1
	s_waitcnt vmcnt(0)
	buffer_inv sc0 sc1
	v_cmp_ne_u64_e32 vcc, v[6:7], v[8:9]
	s_and_saveexec_b64 s[6:7], vcc
	s_cbranch_execz .LBB3_120
; %bb.117:
	s_mov_b64 s[10:11], 0
.LBB3_118:                              ; =>This Inner Loop Header: Depth=1
	s_sleep 1
	global_load_dwordx2 v[2:3], v0, s[26:27] offset:40
	global_load_dwordx2 v[10:11], v0, s[26:27]
	v_mov_b64_e32 v[8:9], v[6:7]
	s_waitcnt vmcnt(1)
	v_and_b32_e32 v2, v2, v8
	v_and_b32_e32 v1, v3, v9
	s_waitcnt vmcnt(0)
	v_mad_u64_u32 v[2:3], s[16:17], v2, 24, v[10:11]
	v_mov_b32_e32 v6, v3
	v_mad_u64_u32 v[6:7], s[16:17], v1, 24, v[6:7]
	v_mov_b32_e32 v3, v6
	global_load_dwordx2 v[6:7], v[2:3], off sc0 sc1
	s_waitcnt vmcnt(0)
	global_atomic_cmpswap_x2 v[6:7], v0, v[6:9], s[26:27] offset:24 sc0 sc1
	s_waitcnt vmcnt(0)
	buffer_inv sc0 sc1
	v_cmp_eq_u64_e32 vcc, v[6:7], v[8:9]
	s_or_b64 s[10:11], vcc, s[10:11]
	s_andn2_b64 exec, exec, s[10:11]
	s_cbranch_execnz .LBB3_118
; %bb.119:
	s_or_b64 exec, exec, s[10:11]
.LBB3_120:
	s_or_b64 exec, exec, s[6:7]
.LBB3_121:
	s_or_b64 exec, exec, s[4:5]
	v_mov_b32_e32 v49, 0
	global_load_dwordx2 v[8:9], v49, s[26:27] offset:40
	global_load_dwordx4 v[0:3], v49, s[26:27]
	v_readfirstlane_b32 s4, v6
	v_readfirstlane_b32 s5, v7
	s_mov_b64 s[6:7], exec
	s_waitcnt vmcnt(1)
	v_readfirstlane_b32 s10, v8
	v_readfirstlane_b32 s11, v9
	s_and_b64 s[10:11], s[4:5], s[10:11]
	s_mul_i32 s15, s11, 24
	s_mul_hi_u32 s16, s10, 24
	s_add_i32 s17, s16, s15
	s_mul_i32 s16, s10, 24
	s_waitcnt vmcnt(0)
	v_lshl_add_u64 v[8:9], v[0:1], 0, s[16:17]
	s_and_saveexec_b64 s[16:17], s[0:1]
	s_cbranch_execz .LBB3_123
; %bb.122:
	v_mov_b64_e32 v[10:11], s[6:7]
	v_mov_b32_e32 v12, 2
	v_mov_b32_e32 v13, 1
	global_store_dwordx4 v[8:9], v[10:13], off offset:8
.LBB3_123:
	s_or_b64 exec, exec, s[16:17]
	s_lshl_b64 s[6:7], s[10:11], 12
	v_lshl_add_u64 v[10:11], v[2:3], 0, s[6:7]
	s_movk_i32 s6, 0xff1f
	s_mov_b32 s28, 0
	v_and_or_b32 v4, v4, s6, 32
	v_mov_b32_e32 v6, v49
	v_mov_b32_e32 v7, v49
	v_readfirstlane_b32 s6, v10
	v_readfirstlane_b32 s7, v11
	s_mov_b32 s29, s28
	s_mov_b32 s30, s28
	;; [unrolled: 1-line block ×3, first 2 shown]
	s_nop 1
	global_store_dwordx4 v48, v[4:7], s[6:7]
	v_mov_b64_e32 v[2:3], s[28:29]
	s_nop 0
	v_mov_b64_e32 v[4:5], s[30:31]
	global_store_dwordx4 v48, v[2:5], s[6:7] offset:16
	global_store_dwordx4 v48, v[2:5], s[6:7] offset:32
	global_store_dwordx4 v48, v[2:5], s[6:7] offset:48
	s_and_saveexec_b64 s[6:7], s[0:1]
	s_cbranch_execz .LBB3_131
; %bb.124:
	v_mov_b32_e32 v6, 0
	global_load_dwordx2 v[14:15], v6, s[26:27] offset:32 sc0 sc1
	global_load_dwordx2 v[2:3], v6, s[26:27] offset:40
	v_mov_b32_e32 v12, s4
	v_mov_b32_e32 v13, s5
	s_waitcnt vmcnt(0)
	v_readfirstlane_b32 s10, v2
	v_readfirstlane_b32 s11, v3
	s_and_b64 s[10:11], s[10:11], s[4:5]
	s_mul_i32 s11, s11, 24
	s_mul_hi_u32 s15, s10, 24
	s_mul_i32 s10, s10, 24
	s_add_i32 s11, s15, s11
	v_lshl_add_u64 v[4:5], v[0:1], 0, s[10:11]
	global_store_dwordx2 v[4:5], v[14:15], off
	buffer_wbl2 sc0 sc1
	s_waitcnt vmcnt(0)
	global_atomic_cmpswap_x2 v[2:3], v6, v[12:15], s[26:27] offset:32 sc0 sc1
	s_waitcnt vmcnt(0)
	v_cmp_ne_u64_e32 vcc, v[2:3], v[14:15]
	s_and_saveexec_b64 s[10:11], vcc
	s_cbranch_execz .LBB3_127
; %bb.125:
	s_mov_b64 s[16:17], 0
.LBB3_126:                              ; =>This Inner Loop Header: Depth=1
	s_sleep 1
	global_store_dwordx2 v[4:5], v[2:3], off
	v_mov_b32_e32 v0, s4
	v_mov_b32_e32 v1, s5
	buffer_wbl2 sc0 sc1
	s_waitcnt vmcnt(0)
	global_atomic_cmpswap_x2 v[0:1], v6, v[0:3], s[26:27] offset:32 sc0 sc1
	s_waitcnt vmcnt(0)
	v_cmp_eq_u64_e32 vcc, v[0:1], v[2:3]
	s_or_b64 s[16:17], vcc, s[16:17]
	v_mov_b64_e32 v[2:3], v[0:1]
	s_andn2_b64 exec, exec, s[16:17]
	s_cbranch_execnz .LBB3_126
.LBB3_127:
	s_or_b64 exec, exec, s[10:11]
	v_mov_b32_e32 v3, 0
	global_load_dwordx2 v[0:1], v3, s[26:27] offset:16
	s_mov_b64 s[10:11], exec
	v_mbcnt_lo_u32_b32 v2, s10, 0
	v_mbcnt_hi_u32_b32 v2, s11, v2
	v_cmp_eq_u32_e32 vcc, 0, v2
	s_and_saveexec_b64 s[16:17], vcc
	s_cbranch_execz .LBB3_129
; %bb.128:
	s_bcnt1_i32_b64 s10, s[10:11]
	v_mov_b32_e32 v2, s10
	buffer_wbl2 sc0 sc1
	s_waitcnt vmcnt(0)
	global_atomic_add_x2 v[0:1], v[2:3], off offset:8 sc1
.LBB3_129:
	s_or_b64 exec, exec, s[16:17]
	s_waitcnt vmcnt(0)
	global_load_dwordx2 v[2:3], v[0:1], off offset:16
	s_waitcnt vmcnt(0)
	v_cmp_eq_u64_e32 vcc, 0, v[2:3]
	s_cbranch_vccnz .LBB3_131
; %bb.130:
	global_load_dword v0, v[0:1], off offset:24
	v_mov_b32_e32 v1, 0
	buffer_wbl2 sc0 sc1
	s_waitcnt vmcnt(0)
	global_store_dwordx2 v[2:3], v[0:1], off sc0 sc1
	v_and_b32_e32 v0, 0xffffff, v0
	s_nop 0
	v_readfirstlane_b32 m0, v0
	s_sendmsg sendmsg(MSG_INTERRUPT)
.LBB3_131:
	s_or_b64 exec, exec, s[6:7]
	v_lshl_add_u64 v[0:1], v[10:11], 0, v[48:49]
	s_branch .LBB3_135
.LBB3_132:                              ;   in Loop: Header=BB3_135 Depth=1
	s_or_b64 exec, exec, s[6:7]
	v_readfirstlane_b32 s6, v2
	s_cmp_eq_u32 s6, 0
	s_cbranch_scc1 .LBB3_134
; %bb.133:                              ;   in Loop: Header=BB3_135 Depth=1
	s_sleep 1
	s_cbranch_execnz .LBB3_135
	s_branch .LBB3_137
.LBB3_134:
	s_branch .LBB3_137
.LBB3_135:                              ; =>This Inner Loop Header: Depth=1
	v_mov_b32_e32 v2, 1
	s_and_saveexec_b64 s[6:7], s[0:1]
	s_cbranch_execz .LBB3_132
; %bb.136:                              ;   in Loop: Header=BB3_135 Depth=1
	global_load_dword v2, v[8:9], off offset:20 sc0 sc1
	s_waitcnt vmcnt(0)
	buffer_inv sc0 sc1
	v_and_b32_e32 v2, 1, v2
	s_branch .LBB3_132
.LBB3_137:
	global_load_dwordx2 v[0:1], v[0:1], off
	s_and_saveexec_b64 s[6:7], s[0:1]
	s_cbranch_execz .LBB3_140
; %bb.138:
	v_mov_b32_e32 v8, 0
	global_load_dwordx2 v[6:7], v8, s[26:27] offset:40
	global_load_dwordx2 v[10:11], v8, s[26:27] offset:24 sc0 sc1
	global_load_dwordx2 v[12:13], v8, s[26:27]
	s_mov_b64 s[0:1], 0
	s_waitcnt vmcnt(2)
	v_lshl_add_u64 v[2:3], v[6:7], 0, 1
	v_lshl_add_u64 v[14:15], v[2:3], 0, s[4:5]
	v_cmp_eq_u64_e32 vcc, 0, v[14:15]
	s_waitcnt vmcnt(1)
	v_mov_b32_e32 v4, v10
	v_cndmask_b32_e32 v3, v15, v3, vcc
	v_cndmask_b32_e32 v2, v14, v2, vcc
	v_and_b32_e32 v5, v3, v7
	v_and_b32_e32 v6, v2, v6
	v_mul_lo_u32 v5, v5, 24
	v_mul_hi_u32 v7, v6, 24
	v_mul_lo_u32 v6, v6, 24
	v_add_u32_e32 v7, v7, v5
	s_waitcnt vmcnt(0)
	v_lshl_add_u64 v[6:7], v[12:13], 0, v[6:7]
	global_store_dwordx2 v[6:7], v[10:11], off
	v_mov_b32_e32 v5, v11
	buffer_wbl2 sc0 sc1
	s_waitcnt vmcnt(0)
	global_atomic_cmpswap_x2 v[4:5], v8, v[2:5], s[26:27] offset:24 sc0 sc1
	s_waitcnt vmcnt(0)
	v_cmp_ne_u64_e32 vcc, v[4:5], v[10:11]
	s_and_b64 exec, exec, vcc
	s_cbranch_execz .LBB3_140
.LBB3_139:                              ; =>This Inner Loop Header: Depth=1
	s_sleep 1
	global_store_dwordx2 v[6:7], v[4:5], off
	buffer_wbl2 sc0 sc1
	s_waitcnt vmcnt(0)
	global_atomic_cmpswap_x2 v[10:11], v8, v[2:5], s[26:27] offset:24 sc0 sc1
	s_waitcnt vmcnt(0)
	v_cmp_eq_u64_e32 vcc, v[10:11], v[4:5]
	s_or_b64 s[0:1], vcc, s[0:1]
	v_mov_b64_e32 v[4:5], v[10:11]
	s_andn2_b64 exec, exec, s[0:1]
	s_cbranch_execnz .LBB3_139
.LBB3_140:
	s_or_b64 exec, exec, s[6:7]
.LBB3_141:
	s_getpc_b64 s[4:5]
	s_add_u32 s4, s4, __PRETTY_FUNCTION__._ZL22equal_custom_predicateRN8migraphx4test12test_managerE@rel32@lo+4
	s_addc_u32 s5, s5, __PRETTY_FUNCTION__._ZL22equal_custom_predicateRN8migraphx4test12test_managerE@rel32@hi+12
	s_cmp_lg_u64 s[4:5], 0
	s_cbranch_scc0 .LBB3_226
; %bb.142:
	s_waitcnt vmcnt(0)
	v_and_b32_e32 v6, -3, v0
	v_mov_b32_e32 v7, v1
	s_mov_b64 s[6:7], 60
	v_mov_b32_e32 v27, 0
	v_mov_b32_e32 v4, 2
	;; [unrolled: 1-line block ×3, first 2 shown]
	s_branch .LBB3_144
.LBB3_143:                              ;   in Loop: Header=BB3_144 Depth=1
	s_or_b64 exec, exec, s[20:21]
	s_sub_u32 s6, s6, s10
	s_subb_u32 s7, s7, s11
	s_add_u32 s4, s4, s10
	s_addc_u32 s5, s5, s11
	s_cmp_lg_u64 s[6:7], 0
	s_cbranch_scc0 .LBB3_225
.LBB3_144:                              ; =>This Loop Header: Depth=1
                                        ;     Child Loop BB3_147 Depth 2
                                        ;     Child Loop BB3_154 Depth 2
	;; [unrolled: 1-line block ×11, first 2 shown]
	v_cmp_lt_u64_e64 s[0:1], s[6:7], 56
	s_and_b64 s[0:1], s[0:1], exec
	v_cmp_gt_u64_e64 s[0:1], s[6:7], 7
	s_cselect_b32 s11, s7, 0
	s_cselect_b32 s10, s6, 56
	s_and_b64 vcc, exec, s[0:1]
	s_cbranch_vccnz .LBB3_149
; %bb.145:                              ;   in Loop: Header=BB3_144 Depth=1
	s_mov_b64 s[0:1], 0
	s_cmp_eq_u64 s[6:7], 0
	s_waitcnt vmcnt(0)
	v_mov_b64_e32 v[8:9], 0
	s_cbranch_scc1 .LBB3_148
; %bb.146:                              ;   in Loop: Header=BB3_144 Depth=1
	s_lshl_b64 s[16:17], s[10:11], 3
	s_mov_b64 s[20:21], 0
	v_mov_b64_e32 v[8:9], 0
	s_mov_b64 s[28:29], s[4:5]
.LBB3_147:                              ;   Parent Loop BB3_144 Depth=1
                                        ; =>  This Inner Loop Header: Depth=2
	global_load_ubyte v2, v27, s[28:29]
	s_waitcnt vmcnt(0)
	v_and_b32_e32 v26, 0xffff, v2
	v_lshlrev_b64 v[2:3], s20, v[26:27]
	s_add_u32 s20, s20, 8
	s_addc_u32 s21, s21, 0
	s_add_u32 s28, s28, 1
	s_addc_u32 s29, s29, 0
	v_or_b32_e32 v8, v2, v8
	s_cmp_lg_u32 s16, s20
	v_or_b32_e32 v9, v3, v9
	s_cbranch_scc1 .LBB3_147
.LBB3_148:                              ;   in Loop: Header=BB3_144 Depth=1
	s_mov_b32 s15, 0
	s_andn2_b64 vcc, exec, s[0:1]
	s_mov_b64 s[0:1], s[4:5]
	s_cbranch_vccz .LBB3_150
	s_branch .LBB3_151
.LBB3_149:                              ;   in Loop: Header=BB3_144 Depth=1
                                        ; implicit-def: $sgpr15
	s_mov_b64 s[0:1], s[4:5]
.LBB3_150:                              ;   in Loop: Header=BB3_144 Depth=1
	global_load_dwordx2 v[8:9], v27, s[4:5]
	s_add_i32 s15, s10, -8
	s_add_u32 s0, s4, 8
	s_addc_u32 s1, s5, 0
.LBB3_151:                              ;   in Loop: Header=BB3_144 Depth=1
	s_cmp_gt_u32 s15, 7
	s_cbranch_scc1 .LBB3_155
; %bb.152:                              ;   in Loop: Header=BB3_144 Depth=1
	s_cmp_eq_u32 s15, 0
	s_cbranch_scc1 .LBB3_156
; %bb.153:                              ;   in Loop: Header=BB3_144 Depth=1
	s_mov_b64 s[16:17], 0
	v_mov_b64_e32 v[10:11], 0
	s_mov_b64 s[20:21], 0
.LBB3_154:                              ;   Parent Loop BB3_144 Depth=1
                                        ; =>  This Inner Loop Header: Depth=2
	s_add_u32 s28, s0, s20
	s_addc_u32 s29, s1, s21
	global_load_ubyte v2, v27, s[28:29]
	s_add_u32 s20, s20, 1
	s_addc_u32 s21, s21, 0
	s_waitcnt vmcnt(0)
	v_and_b32_e32 v26, 0xffff, v2
	v_lshlrev_b64 v[2:3], s16, v[26:27]
	s_add_u32 s16, s16, 8
	s_addc_u32 s17, s17, 0
	v_or_b32_e32 v10, v2, v10
	s_cmp_lg_u32 s15, s20
	v_or_b32_e32 v11, v3, v11
	s_cbranch_scc1 .LBB3_154
	s_branch .LBB3_157
.LBB3_155:                              ;   in Loop: Header=BB3_144 Depth=1
                                        ; implicit-def: $vgpr10_vgpr11
                                        ; implicit-def: $sgpr28
	s_branch .LBB3_158
.LBB3_156:                              ;   in Loop: Header=BB3_144 Depth=1
	v_mov_b64_e32 v[10:11], 0
.LBB3_157:                              ;   in Loop: Header=BB3_144 Depth=1
	s_mov_b32 s28, 0
	s_cbranch_execnz .LBB3_159
.LBB3_158:                              ;   in Loop: Header=BB3_144 Depth=1
	global_load_dwordx2 v[10:11], v27, s[0:1]
	s_add_i32 s28, s15, -8
	s_add_u32 s0, s0, 8
	s_addc_u32 s1, s1, 0
.LBB3_159:                              ;   in Loop: Header=BB3_144 Depth=1
	s_cmp_gt_u32 s28, 7
	s_cbranch_scc1 .LBB3_163
; %bb.160:                              ;   in Loop: Header=BB3_144 Depth=1
	s_cmp_eq_u32 s28, 0
	s_cbranch_scc1 .LBB3_164
; %bb.161:                              ;   in Loop: Header=BB3_144 Depth=1
	s_mov_b64 s[16:17], 0
	v_mov_b64_e32 v[12:13], 0
	s_mov_b64 s[20:21], 0
.LBB3_162:                              ;   Parent Loop BB3_144 Depth=1
                                        ; =>  This Inner Loop Header: Depth=2
	s_add_u32 vcc_lo, s0, s20
	s_addc_u32 vcc_hi, s1, s21
	global_load_ubyte v2, v27, vcc
	s_add_u32 s20, s20, 1
	s_addc_u32 s21, s21, 0
	s_waitcnt vmcnt(0)
	v_and_b32_e32 v26, 0xffff, v2
	v_lshlrev_b64 v[2:3], s16, v[26:27]
	s_add_u32 s16, s16, 8
	s_addc_u32 s17, s17, 0
	v_or_b32_e32 v12, v2, v12
	s_cmp_lg_u32 s28, s20
	v_or_b32_e32 v13, v3, v13
	s_cbranch_scc1 .LBB3_162
	s_branch .LBB3_165
.LBB3_163:                              ;   in Loop: Header=BB3_144 Depth=1
                                        ; implicit-def: $sgpr15
	s_branch .LBB3_166
.LBB3_164:                              ;   in Loop: Header=BB3_144 Depth=1
	v_mov_b64_e32 v[12:13], 0
.LBB3_165:                              ;   in Loop: Header=BB3_144 Depth=1
	s_mov_b32 s15, 0
	s_cbranch_execnz .LBB3_167
.LBB3_166:                              ;   in Loop: Header=BB3_144 Depth=1
	global_load_dwordx2 v[12:13], v27, s[0:1]
	s_add_i32 s15, s28, -8
	s_add_u32 s0, s0, 8
	s_addc_u32 s1, s1, 0
.LBB3_167:                              ;   in Loop: Header=BB3_144 Depth=1
	s_cmp_gt_u32 s15, 7
	s_cbranch_scc1 .LBB3_171
; %bb.168:                              ;   in Loop: Header=BB3_144 Depth=1
	s_cmp_eq_u32 s15, 0
	s_cbranch_scc1 .LBB3_172
; %bb.169:                              ;   in Loop: Header=BB3_144 Depth=1
	s_mov_b64 s[16:17], 0
	v_mov_b64_e32 v[14:15], 0
	s_mov_b64 s[20:21], 0
.LBB3_170:                              ;   Parent Loop BB3_144 Depth=1
                                        ; =>  This Inner Loop Header: Depth=2
	s_add_u32 s28, s0, s20
	s_addc_u32 s29, s1, s21
	global_load_ubyte v2, v27, s[28:29]
	s_add_u32 s20, s20, 1
	s_addc_u32 s21, s21, 0
	s_waitcnt vmcnt(0)
	v_and_b32_e32 v26, 0xffff, v2
	v_lshlrev_b64 v[2:3], s16, v[26:27]
	s_add_u32 s16, s16, 8
	s_addc_u32 s17, s17, 0
	v_or_b32_e32 v14, v2, v14
	s_cmp_lg_u32 s15, s20
	v_or_b32_e32 v15, v3, v15
	s_cbranch_scc1 .LBB3_170
	s_branch .LBB3_173
.LBB3_171:                              ;   in Loop: Header=BB3_144 Depth=1
                                        ; implicit-def: $vgpr14_vgpr15
                                        ; implicit-def: $sgpr28
	s_branch .LBB3_174
.LBB3_172:                              ;   in Loop: Header=BB3_144 Depth=1
	v_mov_b64_e32 v[14:15], 0
.LBB3_173:                              ;   in Loop: Header=BB3_144 Depth=1
	s_mov_b32 s28, 0
	s_cbranch_execnz .LBB3_175
.LBB3_174:                              ;   in Loop: Header=BB3_144 Depth=1
	global_load_dwordx2 v[14:15], v27, s[0:1]
	s_add_i32 s28, s15, -8
	s_add_u32 s0, s0, 8
	s_addc_u32 s1, s1, 0
.LBB3_175:                              ;   in Loop: Header=BB3_144 Depth=1
	s_cmp_gt_u32 s28, 7
	s_cbranch_scc1 .LBB3_179
; %bb.176:                              ;   in Loop: Header=BB3_144 Depth=1
	s_cmp_eq_u32 s28, 0
	s_cbranch_scc1 .LBB3_180
; %bb.177:                              ;   in Loop: Header=BB3_144 Depth=1
	s_mov_b64 s[16:17], 0
	v_mov_b64_e32 v[16:17], 0
	s_mov_b64 s[20:21], 0
.LBB3_178:                              ;   Parent Loop BB3_144 Depth=1
                                        ; =>  This Inner Loop Header: Depth=2
	s_add_u32 vcc_lo, s0, s20
	s_addc_u32 vcc_hi, s1, s21
	global_load_ubyte v2, v27, vcc
	s_add_u32 s20, s20, 1
	s_addc_u32 s21, s21, 0
	s_waitcnt vmcnt(0)
	v_and_b32_e32 v26, 0xffff, v2
	v_lshlrev_b64 v[2:3], s16, v[26:27]
	s_add_u32 s16, s16, 8
	s_addc_u32 s17, s17, 0
	v_or_b32_e32 v16, v2, v16
	s_cmp_lg_u32 s28, s20
	v_or_b32_e32 v17, v3, v17
	s_cbranch_scc1 .LBB3_178
	s_branch .LBB3_181
.LBB3_179:                              ;   in Loop: Header=BB3_144 Depth=1
                                        ; implicit-def: $sgpr15
	s_branch .LBB3_182
.LBB3_180:                              ;   in Loop: Header=BB3_144 Depth=1
	v_mov_b64_e32 v[16:17], 0
.LBB3_181:                              ;   in Loop: Header=BB3_144 Depth=1
	s_mov_b32 s15, 0
	s_cbranch_execnz .LBB3_183
.LBB3_182:                              ;   in Loop: Header=BB3_144 Depth=1
	global_load_dwordx2 v[16:17], v27, s[0:1]
	s_add_i32 s15, s28, -8
	s_add_u32 s0, s0, 8
	s_addc_u32 s1, s1, 0
.LBB3_183:                              ;   in Loop: Header=BB3_144 Depth=1
	s_cmp_gt_u32 s15, 7
	s_cbranch_scc1 .LBB3_187
; %bb.184:                              ;   in Loop: Header=BB3_144 Depth=1
	s_cmp_eq_u32 s15, 0
	s_cbranch_scc1 .LBB3_188
; %bb.185:                              ;   in Loop: Header=BB3_144 Depth=1
	s_mov_b64 s[16:17], 0
	v_mov_b64_e32 v[18:19], 0
	s_mov_b64 s[20:21], 0
.LBB3_186:                              ;   Parent Loop BB3_144 Depth=1
                                        ; =>  This Inner Loop Header: Depth=2
	s_add_u32 s28, s0, s20
	s_addc_u32 s29, s1, s21
	global_load_ubyte v2, v27, s[28:29]
	s_add_u32 s20, s20, 1
	s_addc_u32 s21, s21, 0
	s_waitcnt vmcnt(0)
	v_and_b32_e32 v26, 0xffff, v2
	v_lshlrev_b64 v[2:3], s16, v[26:27]
	s_add_u32 s16, s16, 8
	s_addc_u32 s17, s17, 0
	v_or_b32_e32 v18, v2, v18
	s_cmp_lg_u32 s15, s20
	v_or_b32_e32 v19, v3, v19
	s_cbranch_scc1 .LBB3_186
	s_branch .LBB3_189
.LBB3_187:                              ;   in Loop: Header=BB3_144 Depth=1
                                        ; implicit-def: $vgpr18_vgpr19
                                        ; implicit-def: $sgpr28
	s_branch .LBB3_190
.LBB3_188:                              ;   in Loop: Header=BB3_144 Depth=1
	v_mov_b64_e32 v[18:19], 0
.LBB3_189:                              ;   in Loop: Header=BB3_144 Depth=1
	s_mov_b32 s28, 0
	s_cbranch_execnz .LBB3_191
.LBB3_190:                              ;   in Loop: Header=BB3_144 Depth=1
	global_load_dwordx2 v[18:19], v27, s[0:1]
	s_add_i32 s28, s15, -8
	s_add_u32 s0, s0, 8
	s_addc_u32 s1, s1, 0
.LBB3_191:                              ;   in Loop: Header=BB3_144 Depth=1
	s_cmp_gt_u32 s28, 7
	s_cbranch_scc1 .LBB3_195
; %bb.192:                              ;   in Loop: Header=BB3_144 Depth=1
	s_cmp_eq_u32 s28, 0
	s_cbranch_scc1 .LBB3_196
; %bb.193:                              ;   in Loop: Header=BB3_144 Depth=1
	s_mov_b64 s[16:17], 0
	v_mov_b64_e32 v[20:21], 0
	s_mov_b64 s[20:21], s[0:1]
.LBB3_194:                              ;   Parent Loop BB3_144 Depth=1
                                        ; =>  This Inner Loop Header: Depth=2
	global_load_ubyte v2, v27, s[20:21]
	s_add_i32 s28, s28, -1
	s_waitcnt vmcnt(0)
	v_and_b32_e32 v26, 0xffff, v2
	v_lshlrev_b64 v[2:3], s16, v[26:27]
	s_add_u32 s16, s16, 8
	s_addc_u32 s17, s17, 0
	s_add_u32 s20, s20, 1
	s_addc_u32 s21, s21, 0
	v_or_b32_e32 v20, v2, v20
	s_cmp_lg_u32 s28, 0
	v_or_b32_e32 v21, v3, v21
	s_cbranch_scc1 .LBB3_194
	s_branch .LBB3_197
.LBB3_195:                              ;   in Loop: Header=BB3_144 Depth=1
	s_branch .LBB3_198
.LBB3_196:                              ;   in Loop: Header=BB3_144 Depth=1
	v_mov_b64_e32 v[20:21], 0
.LBB3_197:                              ;   in Loop: Header=BB3_144 Depth=1
	s_cbranch_execnz .LBB3_199
.LBB3_198:                              ;   in Loop: Header=BB3_144 Depth=1
	global_load_dwordx2 v[20:21], v27, s[0:1]
.LBB3_199:                              ;   in Loop: Header=BB3_144 Depth=1
	v_readfirstlane_b32 s0, v37
	v_mov_b64_e32 v[2:3], 0
	s_nop 0
	v_cmp_eq_u32_e64 s[0:1], s0, v37
	s_and_saveexec_b64 s[16:17], s[0:1]
	s_cbranch_execz .LBB3_205
; %bb.200:                              ;   in Loop: Header=BB3_144 Depth=1
	global_load_dwordx2 v[24:25], v27, s[26:27] offset:24 sc0 sc1
	s_waitcnt vmcnt(0)
	buffer_inv sc0 sc1
	global_load_dwordx2 v[2:3], v27, s[26:27] offset:40
	global_load_dwordx2 v[22:23], v27, s[26:27]
	s_waitcnt vmcnt(1)
	v_and_b32_e32 v2, v2, v24
	v_and_b32_e32 v3, v3, v25
	v_mul_lo_u32 v3, v3, 24
	v_mul_hi_u32 v26, v2, 24
	v_add_u32_e32 v3, v26, v3
	v_mul_lo_u32 v2, v2, 24
	s_waitcnt vmcnt(0)
	v_lshl_add_u64 v[2:3], v[22:23], 0, v[2:3]
	global_load_dwordx2 v[22:23], v[2:3], off sc0 sc1
	s_waitcnt vmcnt(0)
	global_atomic_cmpswap_x2 v[2:3], v27, v[22:25], s[26:27] offset:24 sc0 sc1
	s_waitcnt vmcnt(0)
	buffer_inv sc0 sc1
	v_cmp_ne_u64_e32 vcc, v[2:3], v[24:25]
	s_and_saveexec_b64 s[20:21], vcc
	s_cbranch_execz .LBB3_204
; %bb.201:                              ;   in Loop: Header=BB3_144 Depth=1
	s_mov_b64 s[28:29], 0
.LBB3_202:                              ;   Parent Loop BB3_144 Depth=1
                                        ; =>  This Inner Loop Header: Depth=2
	s_sleep 1
	global_load_dwordx2 v[22:23], v27, s[26:27] offset:40
	global_load_dwordx2 v[28:29], v27, s[26:27]
	v_mov_b64_e32 v[24:25], v[2:3]
	s_waitcnt vmcnt(1)
	v_and_b32_e32 v2, v22, v24
	s_waitcnt vmcnt(0)
	v_mad_u64_u32 v[2:3], vcc, v2, 24, v[28:29]
	v_and_b32_e32 v23, v23, v25
	v_mov_b32_e32 v22, v3
	v_mad_u64_u32 v[22:23], vcc, v23, 24, v[22:23]
	v_mov_b32_e32 v3, v22
	global_load_dwordx2 v[22:23], v[2:3], off sc0 sc1
	s_waitcnt vmcnt(0)
	global_atomic_cmpswap_x2 v[2:3], v27, v[22:25], s[26:27] offset:24 sc0 sc1
	s_waitcnt vmcnt(0)
	buffer_inv sc0 sc1
	v_cmp_eq_u64_e32 vcc, v[2:3], v[24:25]
	s_or_b64 s[28:29], vcc, s[28:29]
	s_andn2_b64 exec, exec, s[28:29]
	s_cbranch_execnz .LBB3_202
; %bb.203:                              ;   in Loop: Header=BB3_144 Depth=1
	s_or_b64 exec, exec, s[28:29]
.LBB3_204:                              ;   in Loop: Header=BB3_144 Depth=1
	s_or_b64 exec, exec, s[20:21]
.LBB3_205:                              ;   in Loop: Header=BB3_144 Depth=1
	s_or_b64 exec, exec, s[16:17]
	global_load_dwordx2 v[28:29], v27, s[26:27] offset:40
	global_load_dwordx4 v[22:25], v27, s[26:27]
	v_readfirstlane_b32 s16, v2
	v_readfirstlane_b32 s17, v3
	s_mov_b64 s[20:21], exec
	s_waitcnt vmcnt(1)
	v_readfirstlane_b32 s28, v28
	v_readfirstlane_b32 s29, v29
	s_and_b64 s[28:29], s[16:17], s[28:29]
	s_mul_i32 s15, s29, 24
	s_mul_hi_u32 vcc_lo, s28, 24
	s_add_i32 vcc_hi, vcc_lo, s15
	s_mul_i32 vcc_lo, s28, 24
	s_waitcnt vmcnt(0)
	v_lshl_add_u64 v[28:29], v[22:23], 0, vcc
	s_and_saveexec_b64 vcc, s[0:1]
	s_cbranch_execz .LBB3_207
; %bb.206:                              ;   in Loop: Header=BB3_144 Depth=1
	v_mov_b64_e32 v[2:3], s[20:21]
	global_store_dwordx4 v[28:29], v[2:5], off offset:8
.LBB3_207:                              ;   in Loop: Header=BB3_144 Depth=1
	s_or_b64 exec, exec, vcc
	s_lshl_b64 s[20:21], s[28:29], 12
	v_lshl_add_u64 v[2:3], v[24:25], 0, s[20:21]
	v_or_b32_e32 v24, 2, v6
	v_cmp_gt_u64_e64 vcc, s[6:7], 56
	s_lshl_b32 s15, s10, 2
	s_add_i32 s15, s15, 28
	v_cndmask_b32_e32 v6, v24, v6, vcc
	s_and_b32 s15, s15, 0x1e0
	v_and_b32_e32 v6, 0xffffff1f, v6
	v_or_b32_e32 v6, s15, v6
	v_readfirstlane_b32 s20, v2
	v_readfirstlane_b32 s21, v3
	s_nop 4
	global_store_dwordx4 v48, v[6:9], s[20:21]
	global_store_dwordx4 v48, v[10:13], s[20:21] offset:16
	global_store_dwordx4 v48, v[14:17], s[20:21] offset:32
	;; [unrolled: 1-line block ×3, first 2 shown]
	s_and_saveexec_b64 s[20:21], s[0:1]
	s_cbranch_execz .LBB3_215
; %bb.208:                              ;   in Loop: Header=BB3_144 Depth=1
	global_load_dwordx2 v[14:15], v27, s[26:27] offset:32 sc0 sc1
	global_load_dwordx2 v[6:7], v27, s[26:27] offset:40
	v_mov_b32_e32 v12, s16
	v_mov_b32_e32 v13, s17
	s_waitcnt vmcnt(0)
	v_readfirstlane_b32 s28, v6
	v_readfirstlane_b32 s29, v7
	s_and_b64 s[28:29], s[28:29], s[16:17]
	s_mul_i32 s15, s29, 24
	s_mul_hi_u32 s29, s28, 24
	s_mul_i32 s28, s28, 24
	s_add_i32 s29, s29, s15
	v_lshl_add_u64 v[10:11], v[22:23], 0, s[28:29]
	global_store_dwordx2 v[10:11], v[14:15], off
	buffer_wbl2 sc0 sc1
	s_waitcnt vmcnt(0)
	global_atomic_cmpswap_x2 v[8:9], v27, v[12:15], s[26:27] offset:32 sc0 sc1
	s_waitcnt vmcnt(0)
	v_cmp_ne_u64_e32 vcc, v[8:9], v[14:15]
	s_and_saveexec_b64 s[28:29], vcc
	s_cbranch_execz .LBB3_211
; %bb.209:                              ;   in Loop: Header=BB3_144 Depth=1
	s_mov_b64 s[30:31], 0
.LBB3_210:                              ;   Parent Loop BB3_144 Depth=1
                                        ; =>  This Inner Loop Header: Depth=2
	s_sleep 1
	global_store_dwordx2 v[10:11], v[8:9], off
	v_mov_b32_e32 v6, s16
	v_mov_b32_e32 v7, s17
	buffer_wbl2 sc0 sc1
	s_waitcnt vmcnt(0)
	global_atomic_cmpswap_x2 v[6:7], v27, v[6:9], s[26:27] offset:32 sc0 sc1
	s_waitcnt vmcnt(0)
	v_cmp_eq_u64_e32 vcc, v[6:7], v[8:9]
	s_or_b64 s[30:31], vcc, s[30:31]
	v_mov_b64_e32 v[8:9], v[6:7]
	s_andn2_b64 exec, exec, s[30:31]
	s_cbranch_execnz .LBB3_210
.LBB3_211:                              ;   in Loop: Header=BB3_144 Depth=1
	s_or_b64 exec, exec, s[28:29]
	global_load_dwordx2 v[6:7], v27, s[26:27] offset:16
	s_mov_b64 s[30:31], exec
	v_mbcnt_lo_u32_b32 v8, s30, 0
	v_mbcnt_hi_u32_b32 v8, s31, v8
	v_cmp_eq_u32_e32 vcc, 0, v8
	s_and_saveexec_b64 s[28:29], vcc
	s_cbranch_execz .LBB3_213
; %bb.212:                              ;   in Loop: Header=BB3_144 Depth=1
	s_bcnt1_i32_b64 s15, s[30:31]
	v_mov_b32_e32 v26, s15
	buffer_wbl2 sc0 sc1
	s_waitcnt vmcnt(0)
	global_atomic_add_x2 v[6:7], v[26:27], off offset:8 sc1
.LBB3_213:                              ;   in Loop: Header=BB3_144 Depth=1
	s_or_b64 exec, exec, s[28:29]
	s_waitcnt vmcnt(0)
	global_load_dwordx2 v[8:9], v[6:7], off offset:16
	s_waitcnt vmcnt(0)
	v_cmp_eq_u64_e32 vcc, 0, v[8:9]
	s_cbranch_vccnz .LBB3_215
; %bb.214:                              ;   in Loop: Header=BB3_144 Depth=1
	global_load_dword v26, v[6:7], off offset:24
	s_waitcnt vmcnt(0)
	v_and_b32_e32 v6, 0xffffff, v26
	s_nop 0
	v_readfirstlane_b32 m0, v6
	buffer_wbl2 sc0 sc1
	global_store_dwordx2 v[8:9], v[26:27], off sc0 sc1
	s_sendmsg sendmsg(MSG_INTERRUPT)
.LBB3_215:                              ;   in Loop: Header=BB3_144 Depth=1
	s_or_b64 exec, exec, s[20:21]
	v_mov_b32_e32 v49, v27
	v_lshl_add_u64 v[2:3], v[2:3], 0, v[48:49]
	s_branch .LBB3_219
.LBB3_216:                              ;   in Loop: Header=BB3_219 Depth=2
	s_or_b64 exec, exec, s[20:21]
	v_readfirstlane_b32 s15, v6
	s_cmp_eq_u32 s15, 0
	s_cbranch_scc1 .LBB3_218
; %bb.217:                              ;   in Loop: Header=BB3_219 Depth=2
	s_sleep 1
	s_cbranch_execnz .LBB3_219
	s_branch .LBB3_221
.LBB3_218:                              ;   in Loop: Header=BB3_144 Depth=1
	s_branch .LBB3_221
.LBB3_219:                              ;   Parent Loop BB3_144 Depth=1
                                        ; =>  This Inner Loop Header: Depth=2
	v_mov_b32_e32 v6, 1
	s_and_saveexec_b64 s[20:21], s[0:1]
	s_cbranch_execz .LBB3_216
; %bb.220:                              ;   in Loop: Header=BB3_219 Depth=2
	global_load_dword v6, v[28:29], off offset:20 sc0 sc1
	s_waitcnt vmcnt(0)
	buffer_inv sc0 sc1
	v_and_b32_e32 v6, 1, v6
	s_branch .LBB3_216
.LBB3_221:                              ;   in Loop: Header=BB3_144 Depth=1
	global_load_dwordx4 v[6:9], v[2:3], off
	s_and_saveexec_b64 s[20:21], s[0:1]
	s_cbranch_execz .LBB3_143
; %bb.222:                              ;   in Loop: Header=BB3_144 Depth=1
	global_load_dwordx2 v[2:3], v27, s[26:27] offset:40
	global_load_dwordx2 v[12:13], v27, s[26:27] offset:24 sc0 sc1
	global_load_dwordx2 v[14:15], v27, s[26:27]
	s_waitcnt vmcnt(2)
	v_lshl_add_u64 v[8:9], v[2:3], 0, 1
	v_lshl_add_u64 v[16:17], v[8:9], 0, s[16:17]
	v_cmp_eq_u64_e32 vcc, 0, v[16:17]
	s_waitcnt vmcnt(1)
	v_mov_b32_e32 v10, v12
	v_cndmask_b32_e32 v9, v17, v9, vcc
	v_cndmask_b32_e32 v8, v16, v8, vcc
	v_and_b32_e32 v3, v9, v3
	v_and_b32_e32 v2, v8, v2
	v_mul_lo_u32 v3, v3, 24
	v_mul_hi_u32 v11, v2, 24
	v_mul_lo_u32 v2, v2, 24
	v_add_u32_e32 v3, v11, v3
	s_waitcnt vmcnt(0)
	v_lshl_add_u64 v[2:3], v[14:15], 0, v[2:3]
	global_store_dwordx2 v[2:3], v[12:13], off
	v_mov_b32_e32 v11, v13
	buffer_wbl2 sc0 sc1
	s_waitcnt vmcnt(0)
	global_atomic_cmpswap_x2 v[10:11], v27, v[8:11], s[26:27] offset:24 sc0 sc1
	s_waitcnt vmcnt(0)
	v_cmp_ne_u64_e32 vcc, v[10:11], v[12:13]
	s_and_b64 exec, exec, vcc
	s_cbranch_execz .LBB3_143
; %bb.223:                              ;   in Loop: Header=BB3_144 Depth=1
	s_mov_b64 s[0:1], 0
.LBB3_224:                              ;   Parent Loop BB3_144 Depth=1
                                        ; =>  This Inner Loop Header: Depth=2
	s_sleep 1
	global_store_dwordx2 v[2:3], v[10:11], off
	buffer_wbl2 sc0 sc1
	s_waitcnt vmcnt(0)
	global_atomic_cmpswap_x2 v[12:13], v27, v[8:11], s[26:27] offset:24 sc0 sc1
	s_waitcnt vmcnt(0)
	v_cmp_eq_u64_e32 vcc, v[12:13], v[10:11]
	s_or_b64 s[0:1], vcc, s[0:1]
	v_mov_b64_e32 v[10:11], v[12:13]
	s_andn2_b64 exec, exec, s[0:1]
	s_cbranch_execnz .LBB3_224
	s_branch .LBB3_143
.LBB3_225:
	s_branch .LBB3_253
.LBB3_226:
	s_cbranch_execz .LBB3_253
; %bb.227:
	v_readfirstlane_b32 s0, v37
	s_waitcnt vmcnt(0)
	v_mov_b64_e32 v[8:9], 0
	v_cmp_eq_u32_e64 s[0:1], s0, v37
	s_and_saveexec_b64 s[4:5], s[0:1]
	s_cbranch_execz .LBB3_233
; %bb.228:
	v_mov_b32_e32 v2, 0
	global_load_dwordx2 v[6:7], v2, s[26:27] offset:24 sc0 sc1
	s_waitcnt vmcnt(0)
	buffer_inv sc0 sc1
	global_load_dwordx2 v[4:5], v2, s[26:27] offset:40
	global_load_dwordx2 v[8:9], v2, s[26:27]
	s_waitcnt vmcnt(1)
	v_and_b32_e32 v3, v4, v6
	v_and_b32_e32 v4, v5, v7
	v_mul_lo_u32 v4, v4, 24
	v_mul_hi_u32 v5, v3, 24
	v_add_u32_e32 v5, v5, v4
	v_mul_lo_u32 v4, v3, 24
	s_waitcnt vmcnt(0)
	v_lshl_add_u64 v[4:5], v[8:9], 0, v[4:5]
	global_load_dwordx2 v[4:5], v[4:5], off sc0 sc1
	s_waitcnt vmcnt(0)
	global_atomic_cmpswap_x2 v[8:9], v2, v[4:7], s[26:27] offset:24 sc0 sc1
	s_waitcnt vmcnt(0)
	buffer_inv sc0 sc1
	v_cmp_ne_u64_e32 vcc, v[8:9], v[6:7]
	s_and_saveexec_b64 s[6:7], vcc
	s_cbranch_execz .LBB3_232
; %bb.229:
	s_mov_b64 s[10:11], 0
.LBB3_230:                              ; =>This Inner Loop Header: Depth=1
	s_sleep 1
	global_load_dwordx2 v[4:5], v2, s[26:27] offset:40
	global_load_dwordx2 v[10:11], v2, s[26:27]
	v_mov_b64_e32 v[6:7], v[8:9]
	s_waitcnt vmcnt(1)
	v_and_b32_e32 v4, v4, v6
	v_and_b32_e32 v3, v5, v7
	s_waitcnt vmcnt(0)
	v_mad_u64_u32 v[4:5], s[16:17], v4, 24, v[10:11]
	v_mov_b32_e32 v8, v5
	v_mad_u64_u32 v[8:9], s[16:17], v3, 24, v[8:9]
	v_mov_b32_e32 v5, v8
	global_load_dwordx2 v[4:5], v[4:5], off sc0 sc1
	s_waitcnt vmcnt(0)
	global_atomic_cmpswap_x2 v[8:9], v2, v[4:7], s[26:27] offset:24 sc0 sc1
	s_waitcnt vmcnt(0)
	buffer_inv sc0 sc1
	v_cmp_eq_u64_e32 vcc, v[8:9], v[6:7]
	s_or_b64 s[10:11], vcc, s[10:11]
	s_andn2_b64 exec, exec, s[10:11]
	s_cbranch_execnz .LBB3_230
; %bb.231:
	s_or_b64 exec, exec, s[10:11]
.LBB3_232:
	s_or_b64 exec, exec, s[6:7]
.LBB3_233:
	s_or_b64 exec, exec, s[4:5]
	v_mov_b32_e32 v2, 0
	global_load_dwordx2 v[10:11], v2, s[26:27] offset:40
	global_load_dwordx4 v[4:7], v2, s[26:27]
	v_readfirstlane_b32 s4, v8
	v_readfirstlane_b32 s5, v9
	s_mov_b64 s[6:7], exec
	s_waitcnt vmcnt(1)
	v_readfirstlane_b32 s10, v10
	v_readfirstlane_b32 s11, v11
	s_and_b64 s[10:11], s[4:5], s[10:11]
	s_mul_i32 s15, s11, 24
	s_mul_hi_u32 s16, s10, 24
	s_add_i32 s17, s16, s15
	s_mul_i32 s16, s10, 24
	s_waitcnt vmcnt(0)
	v_lshl_add_u64 v[8:9], v[4:5], 0, s[16:17]
	s_and_saveexec_b64 s[16:17], s[0:1]
	s_cbranch_execz .LBB3_235
; %bb.234:
	v_mov_b64_e32 v[10:11], s[6:7]
	v_mov_b32_e32 v12, 2
	v_mov_b32_e32 v13, 1
	global_store_dwordx4 v[8:9], v[10:13], off offset:8
.LBB3_235:
	s_or_b64 exec, exec, s[16:17]
	s_lshl_b64 s[6:7], s[10:11], 12
	v_lshl_add_u64 v[6:7], v[6:7], 0, s[6:7]
	s_movk_i32 s6, 0xff1d
	s_mov_b32 s28, 0
	v_and_or_b32 v0, v0, s6, 34
	v_mov_b32_e32 v3, v2
	v_readfirstlane_b32 s6, v6
	v_readfirstlane_b32 s7, v7
	s_mov_b32 s29, s28
	s_mov_b32 s30, s28
	;; [unrolled: 1-line block ×3, first 2 shown]
	s_nop 1
	global_store_dwordx4 v48, v[0:3], s[6:7]
	s_nop 1
	v_mov_b64_e32 v[0:1], s[28:29]
	v_mov_b64_e32 v[2:3], s[30:31]
	global_store_dwordx4 v48, v[0:3], s[6:7] offset:16
	global_store_dwordx4 v48, v[0:3], s[6:7] offset:32
	;; [unrolled: 1-line block ×3, first 2 shown]
	s_and_saveexec_b64 s[6:7], s[0:1]
	s_cbranch_execz .LBB3_243
; %bb.236:
	v_mov_b32_e32 v6, 0
	global_load_dwordx2 v[12:13], v6, s[26:27] offset:32 sc0 sc1
	global_load_dwordx2 v[0:1], v6, s[26:27] offset:40
	v_mov_b32_e32 v10, s4
	v_mov_b32_e32 v11, s5
	s_waitcnt vmcnt(0)
	v_readfirstlane_b32 s10, v0
	v_readfirstlane_b32 s11, v1
	s_and_b64 s[10:11], s[10:11], s[4:5]
	s_mul_i32 s11, s11, 24
	s_mul_hi_u32 s15, s10, 24
	s_mul_i32 s10, s10, 24
	s_add_i32 s11, s15, s11
	v_lshl_add_u64 v[4:5], v[4:5], 0, s[10:11]
	global_store_dwordx2 v[4:5], v[12:13], off
	buffer_wbl2 sc0 sc1
	s_waitcnt vmcnt(0)
	global_atomic_cmpswap_x2 v[2:3], v6, v[10:13], s[26:27] offset:32 sc0 sc1
	s_waitcnt vmcnt(0)
	v_cmp_ne_u64_e32 vcc, v[2:3], v[12:13]
	s_and_saveexec_b64 s[10:11], vcc
	s_cbranch_execz .LBB3_239
; %bb.237:
	s_mov_b64 s[16:17], 0
.LBB3_238:                              ; =>This Inner Loop Header: Depth=1
	s_sleep 1
	global_store_dwordx2 v[4:5], v[2:3], off
	v_mov_b32_e32 v0, s4
	v_mov_b32_e32 v1, s5
	buffer_wbl2 sc0 sc1
	s_waitcnt vmcnt(0)
	global_atomic_cmpswap_x2 v[0:1], v6, v[0:3], s[26:27] offset:32 sc0 sc1
	s_waitcnt vmcnt(0)
	v_cmp_eq_u64_e32 vcc, v[0:1], v[2:3]
	s_or_b64 s[16:17], vcc, s[16:17]
	v_mov_b64_e32 v[2:3], v[0:1]
	s_andn2_b64 exec, exec, s[16:17]
	s_cbranch_execnz .LBB3_238
.LBB3_239:
	s_or_b64 exec, exec, s[10:11]
	v_mov_b32_e32 v3, 0
	global_load_dwordx2 v[0:1], v3, s[26:27] offset:16
	s_mov_b64 s[10:11], exec
	v_mbcnt_lo_u32_b32 v2, s10, 0
	v_mbcnt_hi_u32_b32 v2, s11, v2
	v_cmp_eq_u32_e32 vcc, 0, v2
	s_and_saveexec_b64 s[16:17], vcc
	s_cbranch_execz .LBB3_241
; %bb.240:
	s_bcnt1_i32_b64 s10, s[10:11]
	v_mov_b32_e32 v2, s10
	buffer_wbl2 sc0 sc1
	s_waitcnt vmcnt(0)
	global_atomic_add_x2 v[0:1], v[2:3], off offset:8 sc1
.LBB3_241:
	s_or_b64 exec, exec, s[16:17]
	s_waitcnt vmcnt(0)
	global_load_dwordx2 v[2:3], v[0:1], off offset:16
	s_waitcnt vmcnt(0)
	v_cmp_eq_u64_e32 vcc, 0, v[2:3]
	s_cbranch_vccnz .LBB3_243
; %bb.242:
	global_load_dword v0, v[0:1], off offset:24
	v_mov_b32_e32 v1, 0
	buffer_wbl2 sc0 sc1
	s_waitcnt vmcnt(0)
	global_store_dwordx2 v[2:3], v[0:1], off sc0 sc1
	v_and_b32_e32 v0, 0xffffff, v0
	s_nop 0
	v_readfirstlane_b32 m0, v0
	s_sendmsg sendmsg(MSG_INTERRUPT)
.LBB3_243:
	s_or_b64 exec, exec, s[6:7]
	s_branch .LBB3_247
.LBB3_244:                              ;   in Loop: Header=BB3_247 Depth=1
	s_or_b64 exec, exec, s[6:7]
	v_readfirstlane_b32 s6, v0
	s_cmp_eq_u32 s6, 0
	s_cbranch_scc1 .LBB3_246
; %bb.245:                              ;   in Loop: Header=BB3_247 Depth=1
	s_sleep 1
	s_cbranch_execnz .LBB3_247
	s_branch .LBB3_249
.LBB3_246:
	s_branch .LBB3_249
.LBB3_247:                              ; =>This Inner Loop Header: Depth=1
	v_mov_b32_e32 v0, 1
	s_and_saveexec_b64 s[6:7], s[0:1]
	s_cbranch_execz .LBB3_244
; %bb.248:                              ;   in Loop: Header=BB3_247 Depth=1
	global_load_dword v0, v[8:9], off offset:20 sc0 sc1
	s_waitcnt vmcnt(0)
	buffer_inv sc0 sc1
	v_and_b32_e32 v0, 1, v0
	s_branch .LBB3_244
.LBB3_249:
	s_and_saveexec_b64 s[6:7], s[0:1]
	s_cbranch_execz .LBB3_252
; %bb.250:
	v_mov_b32_e32 v6, 0
	global_load_dwordx2 v[4:5], v6, s[26:27] offset:40
	global_load_dwordx2 v[8:9], v6, s[26:27] offset:24 sc0 sc1
	global_load_dwordx2 v[10:11], v6, s[26:27]
	s_mov_b64 s[0:1], 0
	s_waitcnt vmcnt(2)
	v_lshl_add_u64 v[0:1], v[4:5], 0, 1
	v_lshl_add_u64 v[12:13], v[0:1], 0, s[4:5]
	v_cmp_eq_u64_e32 vcc, 0, v[12:13]
	s_waitcnt vmcnt(1)
	v_mov_b32_e32 v2, v8
	v_cndmask_b32_e32 v1, v13, v1, vcc
	v_cndmask_b32_e32 v0, v12, v0, vcc
	v_and_b32_e32 v3, v1, v5
	v_and_b32_e32 v4, v0, v4
	v_mul_lo_u32 v3, v3, 24
	v_mul_hi_u32 v5, v4, 24
	v_mul_lo_u32 v4, v4, 24
	v_add_u32_e32 v5, v5, v3
	s_waitcnt vmcnt(0)
	v_lshl_add_u64 v[4:5], v[10:11], 0, v[4:5]
	global_store_dwordx2 v[4:5], v[8:9], off
	v_mov_b32_e32 v3, v9
	buffer_wbl2 sc0 sc1
	s_waitcnt vmcnt(0)
	global_atomic_cmpswap_x2 v[2:3], v6, v[0:3], s[26:27] offset:24 sc0 sc1
	s_waitcnt vmcnt(0)
	v_cmp_ne_u64_e32 vcc, v[2:3], v[8:9]
	s_and_b64 exec, exec, vcc
	s_cbranch_execz .LBB3_252
.LBB3_251:                              ; =>This Inner Loop Header: Depth=1
	s_sleep 1
	global_store_dwordx2 v[4:5], v[2:3], off
	buffer_wbl2 sc0 sc1
	s_waitcnt vmcnt(0)
	global_atomic_cmpswap_x2 v[8:9], v6, v[0:3], s[26:27] offset:24 sc0 sc1
	s_waitcnt vmcnt(0)
	v_cmp_eq_u64_e32 vcc, v[8:9], v[2:3]
	s_or_b64 s[0:1], vcc, s[0:1]
	v_mov_b64_e32 v[2:3], v[8:9]
	s_andn2_b64 exec, exec, s[0:1]
	s_cbranch_execnz .LBB3_251
.LBB3_252:
	s_or_b64 exec, exec, s[6:7]
.LBB3_253:
	v_readfirstlane_b32 s0, v37
	s_waitcnt vmcnt(0)
	v_mov_b64_e32 v[4:5], 0
	v_cmp_eq_u32_e64 s[0:1], s0, v37
	s_and_saveexec_b64 s[4:5], s[0:1]
	s_cbranch_execz .LBB3_259
; %bb.254:
	v_mov_b32_e32 v0, 0
	global_load_dwordx2 v[6:7], v0, s[26:27] offset:24 sc0 sc1
	s_waitcnt vmcnt(0)
	buffer_inv sc0 sc1
	global_load_dwordx2 v[2:3], v0, s[26:27] offset:40
	global_load_dwordx2 v[4:5], v0, s[26:27]
	s_waitcnt vmcnt(1)
	v_and_b32_e32 v1, v2, v6
	v_and_b32_e32 v2, v3, v7
	v_mul_lo_u32 v2, v2, 24
	v_mul_hi_u32 v3, v1, 24
	v_add_u32_e32 v3, v3, v2
	v_mul_lo_u32 v2, v1, 24
	s_waitcnt vmcnt(0)
	v_lshl_add_u64 v[2:3], v[4:5], 0, v[2:3]
	global_load_dwordx2 v[4:5], v[2:3], off sc0 sc1
	s_waitcnt vmcnt(0)
	global_atomic_cmpswap_x2 v[4:5], v0, v[4:7], s[26:27] offset:24 sc0 sc1
	s_waitcnt vmcnt(0)
	buffer_inv sc0 sc1
	v_cmp_ne_u64_e32 vcc, v[4:5], v[6:7]
	s_and_saveexec_b64 s[6:7], vcc
	s_cbranch_execz .LBB3_258
; %bb.255:
	s_mov_b64 s[10:11], 0
.LBB3_256:                              ; =>This Inner Loop Header: Depth=1
	s_sleep 1
	global_load_dwordx2 v[2:3], v0, s[26:27] offset:40
	global_load_dwordx2 v[8:9], v0, s[26:27]
	v_mov_b64_e32 v[6:7], v[4:5]
	s_waitcnt vmcnt(1)
	v_and_b32_e32 v2, v2, v6
	v_and_b32_e32 v1, v3, v7
	s_waitcnt vmcnt(0)
	v_mad_u64_u32 v[2:3], s[16:17], v2, 24, v[8:9]
	v_mov_b32_e32 v4, v3
	v_mad_u64_u32 v[4:5], s[16:17], v1, 24, v[4:5]
	v_mov_b32_e32 v3, v4
	global_load_dwordx2 v[4:5], v[2:3], off sc0 sc1
	s_waitcnt vmcnt(0)
	global_atomic_cmpswap_x2 v[4:5], v0, v[4:7], s[26:27] offset:24 sc0 sc1
	s_waitcnt vmcnt(0)
	buffer_inv sc0 sc1
	v_cmp_eq_u64_e32 vcc, v[4:5], v[6:7]
	s_or_b64 s[10:11], vcc, s[10:11]
	s_andn2_b64 exec, exec, s[10:11]
	s_cbranch_execnz .LBB3_256
; %bb.257:
	s_or_b64 exec, exec, s[10:11]
.LBB3_258:
	s_or_b64 exec, exec, s[6:7]
.LBB3_259:
	s_or_b64 exec, exec, s[4:5]
	v_mov_b32_e32 v49, 0
	global_load_dwordx2 v[6:7], v49, s[26:27] offset:40
	global_load_dwordx4 v[0:3], v49, s[26:27]
	v_readfirstlane_b32 s4, v4
	v_readfirstlane_b32 s5, v5
	s_mov_b64 s[6:7], exec
	s_waitcnt vmcnt(1)
	v_readfirstlane_b32 s10, v6
	v_readfirstlane_b32 s11, v7
	s_and_b64 s[10:11], s[4:5], s[10:11]
	s_mul_i32 s15, s11, 24
	s_mul_hi_u32 s16, s10, 24
	s_add_i32 s17, s16, s15
	s_mul_i32 s16, s10, 24
	s_waitcnt vmcnt(0)
	v_lshl_add_u64 v[4:5], v[0:1], 0, s[16:17]
	s_and_saveexec_b64 s[16:17], s[0:1]
	s_cbranch_execz .LBB3_261
; %bb.260:
	v_mov_b64_e32 v[6:7], s[6:7]
	v_mov_b32_e32 v8, 2
	v_mov_b32_e32 v9, 1
	global_store_dwordx4 v[4:5], v[6:9], off offset:8
.LBB3_261:
	s_or_b64 exec, exec, s[16:17]
	s_lshl_b64 s[6:7], s[10:11], 12
	v_lshl_add_u64 v[6:7], v[2:3], 0, s[6:7]
	s_mov_b32 s28, 0
	v_mov_b32_e32 v8, 33
	v_mov_b32_e32 v9, v49
	;; [unrolled: 1-line block ×4, first 2 shown]
	v_readfirstlane_b32 s6, v6
	v_readfirstlane_b32 s7, v7
	s_mov_b32 s29, s28
	s_mov_b32 s30, s28
	;; [unrolled: 1-line block ×3, first 2 shown]
	s_nop 1
	global_store_dwordx4 v48, v[8:11], s[6:7]
	s_nop 1
	v_mov_b64_e32 v[8:9], s[28:29]
	v_mov_b64_e32 v[10:11], s[30:31]
	global_store_dwordx4 v48, v[8:11], s[6:7] offset:16
	global_store_dwordx4 v48, v[8:11], s[6:7] offset:32
	;; [unrolled: 1-line block ×3, first 2 shown]
	s_and_saveexec_b64 s[6:7], s[0:1]
	s_cbranch_execz .LBB3_269
; %bb.262:
	v_mov_b32_e32 v10, 0
	global_load_dwordx2 v[14:15], v10, s[26:27] offset:32 sc0 sc1
	global_load_dwordx2 v[2:3], v10, s[26:27] offset:40
	v_mov_b32_e32 v12, s4
	v_mov_b32_e32 v13, s5
	s_waitcnt vmcnt(0)
	v_readfirstlane_b32 s10, v2
	v_readfirstlane_b32 s11, v3
	s_and_b64 s[10:11], s[10:11], s[4:5]
	s_mul_i32 s11, s11, 24
	s_mul_hi_u32 s15, s10, 24
	s_mul_i32 s10, s10, 24
	s_add_i32 s11, s15, s11
	v_lshl_add_u64 v[8:9], v[0:1], 0, s[10:11]
	global_store_dwordx2 v[8:9], v[14:15], off
	buffer_wbl2 sc0 sc1
	s_waitcnt vmcnt(0)
	global_atomic_cmpswap_x2 v[2:3], v10, v[12:15], s[26:27] offset:32 sc0 sc1
	s_waitcnt vmcnt(0)
	v_cmp_ne_u64_e32 vcc, v[2:3], v[14:15]
	s_and_saveexec_b64 s[10:11], vcc
	s_cbranch_execz .LBB3_265
; %bb.263:
	s_mov_b64 s[16:17], 0
.LBB3_264:                              ; =>This Inner Loop Header: Depth=1
	s_sleep 1
	global_store_dwordx2 v[8:9], v[2:3], off
	v_mov_b32_e32 v0, s4
	v_mov_b32_e32 v1, s5
	buffer_wbl2 sc0 sc1
	s_waitcnt vmcnt(0)
	global_atomic_cmpswap_x2 v[0:1], v10, v[0:3], s[26:27] offset:32 sc0 sc1
	s_waitcnt vmcnt(0)
	v_cmp_eq_u64_e32 vcc, v[0:1], v[2:3]
	s_or_b64 s[16:17], vcc, s[16:17]
	v_mov_b64_e32 v[2:3], v[0:1]
	s_andn2_b64 exec, exec, s[16:17]
	s_cbranch_execnz .LBB3_264
.LBB3_265:
	s_or_b64 exec, exec, s[10:11]
	v_mov_b32_e32 v3, 0
	global_load_dwordx2 v[0:1], v3, s[26:27] offset:16
	s_mov_b64 s[10:11], exec
	v_mbcnt_lo_u32_b32 v2, s10, 0
	v_mbcnt_hi_u32_b32 v2, s11, v2
	v_cmp_eq_u32_e32 vcc, 0, v2
	s_and_saveexec_b64 s[16:17], vcc
	s_cbranch_execz .LBB3_267
; %bb.266:
	s_bcnt1_i32_b64 s10, s[10:11]
	v_mov_b32_e32 v2, s10
	buffer_wbl2 sc0 sc1
	s_waitcnt vmcnt(0)
	global_atomic_add_x2 v[0:1], v[2:3], off offset:8 sc1
.LBB3_267:
	s_or_b64 exec, exec, s[16:17]
	s_waitcnt vmcnt(0)
	global_load_dwordx2 v[2:3], v[0:1], off offset:16
	s_waitcnt vmcnt(0)
	v_cmp_eq_u64_e32 vcc, 0, v[2:3]
	s_cbranch_vccnz .LBB3_269
; %bb.268:
	global_load_dword v0, v[0:1], off offset:24
	v_mov_b32_e32 v1, 0
	buffer_wbl2 sc0 sc1
	s_waitcnt vmcnt(0)
	global_store_dwordx2 v[2:3], v[0:1], off sc0 sc1
	v_and_b32_e32 v0, 0xffffff, v0
	s_nop 0
	v_readfirstlane_b32 m0, v0
	s_sendmsg sendmsg(MSG_INTERRUPT)
.LBB3_269:
	s_or_b64 exec, exec, s[6:7]
	v_lshl_add_u64 v[0:1], v[6:7], 0, v[48:49]
	s_branch .LBB3_273
.LBB3_270:                              ;   in Loop: Header=BB3_273 Depth=1
	s_or_b64 exec, exec, s[6:7]
	v_readfirstlane_b32 s6, v2
	s_cmp_eq_u32 s6, 0
	s_cbranch_scc1 .LBB3_272
; %bb.271:                              ;   in Loop: Header=BB3_273 Depth=1
	s_sleep 1
	s_cbranch_execnz .LBB3_273
	s_branch .LBB3_275
.LBB3_272:
	s_branch .LBB3_275
.LBB3_273:                              ; =>This Inner Loop Header: Depth=1
	v_mov_b32_e32 v2, 1
	s_and_saveexec_b64 s[6:7], s[0:1]
	s_cbranch_execz .LBB3_270
; %bb.274:                              ;   in Loop: Header=BB3_273 Depth=1
	global_load_dword v2, v[4:5], off offset:20 sc0 sc1
	s_waitcnt vmcnt(0)
	buffer_inv sc0 sc1
	v_and_b32_e32 v2, 1, v2
	s_branch .LBB3_270
.LBB3_275:
	global_load_dwordx2 v[0:1], v[0:1], off
	s_and_saveexec_b64 s[6:7], s[0:1]
	s_cbranch_execz .LBB3_278
; %bb.276:
	v_mov_b32_e32 v8, 0
	global_load_dwordx2 v[6:7], v8, s[26:27] offset:40
	global_load_dwordx2 v[10:11], v8, s[26:27] offset:24 sc0 sc1
	global_load_dwordx2 v[12:13], v8, s[26:27]
	s_mov_b64 s[0:1], 0
	s_waitcnt vmcnt(2)
	v_lshl_add_u64 v[2:3], v[6:7], 0, 1
	v_lshl_add_u64 v[14:15], v[2:3], 0, s[4:5]
	v_cmp_eq_u64_e32 vcc, 0, v[14:15]
	s_waitcnt vmcnt(1)
	v_mov_b32_e32 v4, v10
	v_cndmask_b32_e32 v3, v15, v3, vcc
	v_cndmask_b32_e32 v2, v14, v2, vcc
	v_and_b32_e32 v5, v3, v7
	v_and_b32_e32 v6, v2, v6
	v_mul_lo_u32 v5, v5, 24
	v_mul_hi_u32 v7, v6, 24
	v_mul_lo_u32 v6, v6, 24
	v_add_u32_e32 v7, v7, v5
	s_waitcnt vmcnt(0)
	v_lshl_add_u64 v[6:7], v[12:13], 0, v[6:7]
	global_store_dwordx2 v[6:7], v[10:11], off
	v_mov_b32_e32 v5, v11
	buffer_wbl2 sc0 sc1
	s_waitcnt vmcnt(0)
	global_atomic_cmpswap_x2 v[4:5], v8, v[2:5], s[26:27] offset:24 sc0 sc1
	s_waitcnt vmcnt(0)
	v_cmp_ne_u64_e32 vcc, v[4:5], v[10:11]
	s_and_b64 exec, exec, vcc
	s_cbranch_execz .LBB3_278
.LBB3_277:                              ; =>This Inner Loop Header: Depth=1
	s_sleep 1
	global_store_dwordx2 v[6:7], v[4:5], off
	buffer_wbl2 sc0 sc1
	s_waitcnt vmcnt(0)
	global_atomic_cmpswap_x2 v[10:11], v8, v[2:5], s[26:27] offset:24 sc0 sc1
	s_waitcnt vmcnt(0)
	v_cmp_eq_u64_e32 vcc, v[10:11], v[4:5]
	s_or_b64 s[0:1], vcc, s[0:1]
	v_mov_b64_e32 v[4:5], v[10:11]
	s_andn2_b64 exec, exec, s[0:1]
	s_cbranch_execnz .LBB3_277
.LBB3_278:
	s_or_b64 exec, exec, s[6:7]
	s_getpc_b64 s[4:5]
	s_add_u32 s4, s4, .str.6@rel32@lo+4
	s_addc_u32 s5, s5, .str.6@rel32@hi+12
	s_cmp_lg_u64 s[4:5], 0
	s_cselect_b64 s[28:29], -1, 0
	s_and_b64 vcc, exec, s[28:29]
	s_cbranch_vccz .LBB3_363
; %bb.279:
	s_waitcnt vmcnt(0)
	v_and_b32_e32 v28, 2, v0
	v_mov_b32_e32 v31, 0
	v_and_b32_e32 v2, -3, v0
	v_mov_b32_e32 v3, v1
	s_mov_b64 s[6:7], 3
	v_mov_b32_e32 v6, 2
	v_mov_b32_e32 v7, 1
	s_branch .LBB3_281
.LBB3_280:                              ;   in Loop: Header=BB3_281 Depth=1
	s_or_b64 exec, exec, s[20:21]
	s_sub_u32 s6, s6, s10
	s_subb_u32 s7, s7, s11
	s_add_u32 s4, s4, s10
	s_addc_u32 s5, s5, s11
	s_cmp_lg_u64 s[6:7], 0
	s_cbranch_scc0 .LBB3_362
.LBB3_281:                              ; =>This Loop Header: Depth=1
                                        ;     Child Loop BB3_284 Depth 2
                                        ;     Child Loop BB3_291 Depth 2
	;; [unrolled: 1-line block ×11, first 2 shown]
	v_cmp_lt_u64_e64 s[0:1], s[6:7], 56
	s_and_b64 s[0:1], s[0:1], exec
	v_cmp_gt_u64_e64 s[0:1], s[6:7], 7
	s_cselect_b32 s11, s7, 0
	s_cselect_b32 s10, s6, 56
	s_and_b64 vcc, exec, s[0:1]
	s_cbranch_vccnz .LBB3_286
; %bb.282:                              ;   in Loop: Header=BB3_281 Depth=1
	s_mov_b64 s[0:1], 0
	s_cmp_eq_u64 s[6:7], 0
	v_mov_b64_e32 v[10:11], 0
	s_cbranch_scc1 .LBB3_285
; %bb.283:                              ;   in Loop: Header=BB3_281 Depth=1
	s_lshl_b64 s[16:17], s[10:11], 3
	s_mov_b64 s[20:21], 0
	v_mov_b64_e32 v[10:11], 0
	s_mov_b64 vcc, s[4:5]
.LBB3_284:                              ;   Parent Loop BB3_281 Depth=1
                                        ; =>  This Inner Loop Header: Depth=2
	global_load_ubyte v4, v31, vcc
	s_waitcnt vmcnt(0)
	v_and_b32_e32 v30, 0xffff, v4
	v_lshlrev_b64 v[4:5], s20, v[30:31]
	s_add_u32 s20, s20, 8
	s_addc_u32 s21, s21, 0
	s_add_u32 vcc_lo, vcc_lo, 1
	s_addc_u32 vcc_hi, vcc_hi, 0
	v_or_b32_e32 v10, v4, v10
	s_cmp_lg_u32 s16, s20
	v_or_b32_e32 v11, v5, v11
	s_cbranch_scc1 .LBB3_284
.LBB3_285:                              ;   in Loop: Header=BB3_281 Depth=1
	s_mov_b32 s15, 0
	s_andn2_b64 vcc, exec, s[0:1]
	s_mov_b64 s[0:1], s[4:5]
	s_cbranch_vccz .LBB3_287
	s_branch .LBB3_288
.LBB3_286:                              ;   in Loop: Header=BB3_281 Depth=1
                                        ; implicit-def: $vgpr10_vgpr11
                                        ; implicit-def: $sgpr15
	s_mov_b64 s[0:1], s[4:5]
.LBB3_287:                              ;   in Loop: Header=BB3_281 Depth=1
	global_load_dwordx2 v[10:11], v31, s[4:5]
	s_add_i32 s15, s10, -8
	s_add_u32 s0, s4, 8
	s_addc_u32 s1, s5, 0
.LBB3_288:                              ;   in Loop: Header=BB3_281 Depth=1
	s_cmp_gt_u32 s15, 7
	s_cbranch_scc1 .LBB3_292
; %bb.289:                              ;   in Loop: Header=BB3_281 Depth=1
	s_cmp_eq_u32 s15, 0
	s_cbranch_scc1 .LBB3_293
; %bb.290:                              ;   in Loop: Header=BB3_281 Depth=1
	s_mov_b64 s[16:17], 0
	v_mov_b64_e32 v[12:13], 0
	s_mov_b64 s[20:21], 0
.LBB3_291:                              ;   Parent Loop BB3_281 Depth=1
                                        ; =>  This Inner Loop Header: Depth=2
	s_add_u32 vcc_lo, s0, s20
	s_addc_u32 vcc_hi, s1, s21
	global_load_ubyte v4, v31, vcc
	s_add_u32 s20, s20, 1
	s_addc_u32 s21, s21, 0
	s_waitcnt vmcnt(0)
	v_and_b32_e32 v30, 0xffff, v4
	v_lshlrev_b64 v[4:5], s16, v[30:31]
	s_add_u32 s16, s16, 8
	s_addc_u32 s17, s17, 0
	v_or_b32_e32 v12, v4, v12
	s_cmp_lg_u32 s15, s20
	v_or_b32_e32 v13, v5, v13
	s_cbranch_scc1 .LBB3_291
	s_branch .LBB3_294
.LBB3_292:                              ;   in Loop: Header=BB3_281 Depth=1
                                        ; implicit-def: $vgpr12_vgpr13
                                        ; implicit-def: $sgpr30
	s_branch .LBB3_295
.LBB3_293:                              ;   in Loop: Header=BB3_281 Depth=1
	v_mov_b64_e32 v[12:13], 0
.LBB3_294:                              ;   in Loop: Header=BB3_281 Depth=1
	s_mov_b32 s30, 0
	s_cbranch_execnz .LBB3_296
.LBB3_295:                              ;   in Loop: Header=BB3_281 Depth=1
	global_load_dwordx2 v[12:13], v31, s[0:1]
	s_add_i32 s30, s15, -8
	s_add_u32 s0, s0, 8
	s_addc_u32 s1, s1, 0
.LBB3_296:                              ;   in Loop: Header=BB3_281 Depth=1
	s_cmp_gt_u32 s30, 7
	s_cbranch_scc1 .LBB3_300
; %bb.297:                              ;   in Loop: Header=BB3_281 Depth=1
	s_cmp_eq_u32 s30, 0
	s_cbranch_scc1 .LBB3_301
; %bb.298:                              ;   in Loop: Header=BB3_281 Depth=1
	s_mov_b64 s[16:17], 0
	v_mov_b64_e32 v[14:15], 0
	s_mov_b64 s[20:21], 0
.LBB3_299:                              ;   Parent Loop BB3_281 Depth=1
                                        ; =>  This Inner Loop Header: Depth=2
	s_add_u32 vcc_lo, s0, s20
	s_addc_u32 vcc_hi, s1, s21
	global_load_ubyte v4, v31, vcc
	s_add_u32 s20, s20, 1
	s_addc_u32 s21, s21, 0
	s_waitcnt vmcnt(0)
	v_and_b32_e32 v30, 0xffff, v4
	v_lshlrev_b64 v[4:5], s16, v[30:31]
	s_add_u32 s16, s16, 8
	s_addc_u32 s17, s17, 0
	v_or_b32_e32 v14, v4, v14
	s_cmp_lg_u32 s30, s20
	v_or_b32_e32 v15, v5, v15
	s_cbranch_scc1 .LBB3_299
	s_branch .LBB3_302
.LBB3_300:                              ;   in Loop: Header=BB3_281 Depth=1
                                        ; implicit-def: $sgpr15
	s_branch .LBB3_303
.LBB3_301:                              ;   in Loop: Header=BB3_281 Depth=1
	v_mov_b64_e32 v[14:15], 0
.LBB3_302:                              ;   in Loop: Header=BB3_281 Depth=1
	s_mov_b32 s15, 0
	s_cbranch_execnz .LBB3_304
.LBB3_303:                              ;   in Loop: Header=BB3_281 Depth=1
	global_load_dwordx2 v[14:15], v31, s[0:1]
	s_add_i32 s15, s30, -8
	s_add_u32 s0, s0, 8
	s_addc_u32 s1, s1, 0
.LBB3_304:                              ;   in Loop: Header=BB3_281 Depth=1
	s_cmp_gt_u32 s15, 7
	s_cbranch_scc1 .LBB3_308
; %bb.305:                              ;   in Loop: Header=BB3_281 Depth=1
	s_cmp_eq_u32 s15, 0
	s_cbranch_scc1 .LBB3_309
; %bb.306:                              ;   in Loop: Header=BB3_281 Depth=1
	s_mov_b64 s[16:17], 0
	v_mov_b64_e32 v[16:17], 0
	s_mov_b64 s[20:21], 0
.LBB3_307:                              ;   Parent Loop BB3_281 Depth=1
                                        ; =>  This Inner Loop Header: Depth=2
	s_add_u32 vcc_lo, s0, s20
	s_addc_u32 vcc_hi, s1, s21
	global_load_ubyte v4, v31, vcc
	s_add_u32 s20, s20, 1
	s_addc_u32 s21, s21, 0
	s_waitcnt vmcnt(0)
	v_and_b32_e32 v30, 0xffff, v4
	v_lshlrev_b64 v[4:5], s16, v[30:31]
	s_add_u32 s16, s16, 8
	s_addc_u32 s17, s17, 0
	v_or_b32_e32 v16, v4, v16
	s_cmp_lg_u32 s15, s20
	v_or_b32_e32 v17, v5, v17
	s_cbranch_scc1 .LBB3_307
	s_branch .LBB3_310
.LBB3_308:                              ;   in Loop: Header=BB3_281 Depth=1
                                        ; implicit-def: $vgpr16_vgpr17
                                        ; implicit-def: $sgpr30
	s_branch .LBB3_311
.LBB3_309:                              ;   in Loop: Header=BB3_281 Depth=1
	v_mov_b64_e32 v[16:17], 0
.LBB3_310:                              ;   in Loop: Header=BB3_281 Depth=1
	s_mov_b32 s30, 0
	s_cbranch_execnz .LBB3_312
.LBB3_311:                              ;   in Loop: Header=BB3_281 Depth=1
	global_load_dwordx2 v[16:17], v31, s[0:1]
	s_add_i32 s30, s15, -8
	s_add_u32 s0, s0, 8
	s_addc_u32 s1, s1, 0
.LBB3_312:                              ;   in Loop: Header=BB3_281 Depth=1
	s_cmp_gt_u32 s30, 7
	s_cbranch_scc1 .LBB3_316
; %bb.313:                              ;   in Loop: Header=BB3_281 Depth=1
	s_cmp_eq_u32 s30, 0
	s_cbranch_scc1 .LBB3_317
; %bb.314:                              ;   in Loop: Header=BB3_281 Depth=1
	s_mov_b64 s[16:17], 0
	v_mov_b64_e32 v[18:19], 0
	s_mov_b64 s[20:21], 0
.LBB3_315:                              ;   Parent Loop BB3_281 Depth=1
                                        ; =>  This Inner Loop Header: Depth=2
	s_add_u32 vcc_lo, s0, s20
	s_addc_u32 vcc_hi, s1, s21
	global_load_ubyte v4, v31, vcc
	s_add_u32 s20, s20, 1
	s_addc_u32 s21, s21, 0
	s_waitcnt vmcnt(0)
	v_and_b32_e32 v30, 0xffff, v4
	v_lshlrev_b64 v[4:5], s16, v[30:31]
	s_add_u32 s16, s16, 8
	s_addc_u32 s17, s17, 0
	v_or_b32_e32 v18, v4, v18
	s_cmp_lg_u32 s30, s20
	v_or_b32_e32 v19, v5, v19
	s_cbranch_scc1 .LBB3_315
	s_branch .LBB3_318
.LBB3_316:                              ;   in Loop: Header=BB3_281 Depth=1
                                        ; implicit-def: $sgpr15
	s_branch .LBB3_319
.LBB3_317:                              ;   in Loop: Header=BB3_281 Depth=1
	v_mov_b64_e32 v[18:19], 0
.LBB3_318:                              ;   in Loop: Header=BB3_281 Depth=1
	s_mov_b32 s15, 0
	s_cbranch_execnz .LBB3_320
.LBB3_319:                              ;   in Loop: Header=BB3_281 Depth=1
	global_load_dwordx2 v[18:19], v31, s[0:1]
	s_add_i32 s15, s30, -8
	s_add_u32 s0, s0, 8
	s_addc_u32 s1, s1, 0
.LBB3_320:                              ;   in Loop: Header=BB3_281 Depth=1
	s_cmp_gt_u32 s15, 7
	s_cbranch_scc1 .LBB3_324
; %bb.321:                              ;   in Loop: Header=BB3_281 Depth=1
	s_cmp_eq_u32 s15, 0
	s_cbranch_scc1 .LBB3_325
; %bb.322:                              ;   in Loop: Header=BB3_281 Depth=1
	s_mov_b64 s[16:17], 0
	v_mov_b64_e32 v[20:21], 0
	s_mov_b64 s[20:21], 0
.LBB3_323:                              ;   Parent Loop BB3_281 Depth=1
                                        ; =>  This Inner Loop Header: Depth=2
	s_add_u32 vcc_lo, s0, s20
	s_addc_u32 vcc_hi, s1, s21
	global_load_ubyte v4, v31, vcc
	s_add_u32 s20, s20, 1
	s_addc_u32 s21, s21, 0
	s_waitcnt vmcnt(0)
	v_and_b32_e32 v30, 0xffff, v4
	v_lshlrev_b64 v[4:5], s16, v[30:31]
	s_add_u32 s16, s16, 8
	s_addc_u32 s17, s17, 0
	v_or_b32_e32 v20, v4, v20
	s_cmp_lg_u32 s15, s20
	v_or_b32_e32 v21, v5, v21
	s_cbranch_scc1 .LBB3_323
	s_branch .LBB3_326
.LBB3_324:                              ;   in Loop: Header=BB3_281 Depth=1
                                        ; implicit-def: $vgpr20_vgpr21
                                        ; implicit-def: $sgpr30
	s_branch .LBB3_327
.LBB3_325:                              ;   in Loop: Header=BB3_281 Depth=1
	v_mov_b64_e32 v[20:21], 0
.LBB3_326:                              ;   in Loop: Header=BB3_281 Depth=1
	s_mov_b32 s30, 0
	s_cbranch_execnz .LBB3_328
.LBB3_327:                              ;   in Loop: Header=BB3_281 Depth=1
	global_load_dwordx2 v[20:21], v31, s[0:1]
	s_add_i32 s30, s15, -8
	s_add_u32 s0, s0, 8
	s_addc_u32 s1, s1, 0
.LBB3_328:                              ;   in Loop: Header=BB3_281 Depth=1
	s_cmp_gt_u32 s30, 7
	s_cbranch_scc1 .LBB3_332
; %bb.329:                              ;   in Loop: Header=BB3_281 Depth=1
	s_cmp_eq_u32 s30, 0
	s_cbranch_scc1 .LBB3_333
; %bb.330:                              ;   in Loop: Header=BB3_281 Depth=1
	s_mov_b64 s[16:17], 0
	v_mov_b64_e32 v[22:23], 0
	s_mov_b64 s[20:21], s[0:1]
.LBB3_331:                              ;   Parent Loop BB3_281 Depth=1
                                        ; =>  This Inner Loop Header: Depth=2
	global_load_ubyte v4, v31, s[20:21]
	s_add_i32 s30, s30, -1
	s_waitcnt vmcnt(0)
	v_and_b32_e32 v30, 0xffff, v4
	v_lshlrev_b64 v[4:5], s16, v[30:31]
	s_add_u32 s16, s16, 8
	s_addc_u32 s17, s17, 0
	s_add_u32 s20, s20, 1
	s_addc_u32 s21, s21, 0
	v_or_b32_e32 v22, v4, v22
	s_cmp_lg_u32 s30, 0
	v_or_b32_e32 v23, v5, v23
	s_cbranch_scc1 .LBB3_331
	s_branch .LBB3_334
.LBB3_332:                              ;   in Loop: Header=BB3_281 Depth=1
	s_branch .LBB3_335
.LBB3_333:                              ;   in Loop: Header=BB3_281 Depth=1
	v_mov_b64_e32 v[22:23], 0
.LBB3_334:                              ;   in Loop: Header=BB3_281 Depth=1
	s_cbranch_execnz .LBB3_336
.LBB3_335:                              ;   in Loop: Header=BB3_281 Depth=1
	global_load_dwordx2 v[22:23], v31, s[0:1]
.LBB3_336:                              ;   in Loop: Header=BB3_281 Depth=1
	v_readfirstlane_b32 s0, v37
	s_waitcnt vmcnt(0)
	v_mov_b64_e32 v[4:5], 0
	v_cmp_eq_u32_e64 s[0:1], s0, v37
	s_and_saveexec_b64 s[16:17], s[0:1]
	s_cbranch_execz .LBB3_342
; %bb.337:                              ;   in Loop: Header=BB3_281 Depth=1
	global_load_dwordx2 v[26:27], v31, s[26:27] offset:24 sc0 sc1
	s_waitcnt vmcnt(0)
	buffer_inv sc0 sc1
	global_load_dwordx2 v[4:5], v31, s[26:27] offset:40
	global_load_dwordx2 v[8:9], v31, s[26:27]
	s_waitcnt vmcnt(1)
	v_and_b32_e32 v4, v4, v26
	v_and_b32_e32 v5, v5, v27
	v_mul_lo_u32 v5, v5, 24
	v_mul_hi_u32 v24, v4, 24
	v_add_u32_e32 v5, v24, v5
	v_mul_lo_u32 v4, v4, 24
	s_waitcnt vmcnt(0)
	v_lshl_add_u64 v[4:5], v[8:9], 0, v[4:5]
	global_load_dwordx2 v[24:25], v[4:5], off sc0 sc1
	s_waitcnt vmcnt(0)
	global_atomic_cmpswap_x2 v[4:5], v31, v[24:27], s[26:27] offset:24 sc0 sc1
	s_waitcnt vmcnt(0)
	buffer_inv sc0 sc1
	v_cmp_ne_u64_e32 vcc, v[4:5], v[26:27]
	s_and_saveexec_b64 s[20:21], vcc
	s_cbranch_execz .LBB3_341
; %bb.338:                              ;   in Loop: Header=BB3_281 Depth=1
	s_mov_b64 s[30:31], 0
.LBB3_339:                              ;   Parent Loop BB3_281 Depth=1
                                        ; =>  This Inner Loop Header: Depth=2
	s_sleep 1
	global_load_dwordx2 v[8:9], v31, s[26:27] offset:40
	global_load_dwordx2 v[24:25], v31, s[26:27]
	v_mov_b64_e32 v[26:27], v[4:5]
	s_waitcnt vmcnt(1)
	v_and_b32_e32 v4, v8, v26
	s_waitcnt vmcnt(0)
	v_mad_u64_u32 v[4:5], vcc, v4, 24, v[24:25]
	v_and_b32_e32 v9, v9, v27
	v_mov_b32_e32 v8, v5
	v_mad_u64_u32 v[8:9], vcc, v9, 24, v[8:9]
	v_mov_b32_e32 v5, v8
	global_load_dwordx2 v[24:25], v[4:5], off sc0 sc1
	s_waitcnt vmcnt(0)
	global_atomic_cmpswap_x2 v[4:5], v31, v[24:27], s[26:27] offset:24 sc0 sc1
	s_waitcnt vmcnt(0)
	buffer_inv sc0 sc1
	v_cmp_eq_u64_e32 vcc, v[4:5], v[26:27]
	s_or_b64 s[30:31], vcc, s[30:31]
	s_andn2_b64 exec, exec, s[30:31]
	s_cbranch_execnz .LBB3_339
; %bb.340:                              ;   in Loop: Header=BB3_281 Depth=1
	s_or_b64 exec, exec, s[30:31]
.LBB3_341:                              ;   in Loop: Header=BB3_281 Depth=1
	s_or_b64 exec, exec, s[20:21]
.LBB3_342:                              ;   in Loop: Header=BB3_281 Depth=1
	s_or_b64 exec, exec, s[16:17]
	global_load_dwordx2 v[8:9], v31, s[26:27] offset:40
	global_load_dwordx4 v[24:27], v31, s[26:27]
	v_readfirstlane_b32 s16, v4
	v_readfirstlane_b32 s17, v5
	s_mov_b64 s[20:21], exec
	s_waitcnt vmcnt(1)
	v_readfirstlane_b32 vcc_lo, v8
	v_readfirstlane_b32 vcc_hi, v9
	s_and_b64 vcc, s[16:17], vcc
	s_mul_i32 s15, vcc_hi, 24
	s_mul_hi_u32 s30, vcc_lo, 24
	s_add_i32 s31, s30, s15
	s_mul_i32 s30, vcc_lo, 24
	s_waitcnt vmcnt(0)
	v_lshl_add_u64 v[32:33], v[24:25], 0, s[30:31]
	s_and_saveexec_b64 s[30:31], s[0:1]
	s_cbranch_execz .LBB3_344
; %bb.343:                              ;   in Loop: Header=BB3_281 Depth=1
	v_mov_b64_e32 v[4:5], s[20:21]
	global_store_dwordx4 v[32:33], v[4:7], off offset:8
.LBB3_344:                              ;   in Loop: Header=BB3_281 Depth=1
	s_or_b64 exec, exec, s[30:31]
	s_lshl_b64 s[20:21], vcc, 12
	v_or_b32_e32 v5, v2, v28
	v_cmp_gt_u64_e64 vcc, s[6:7], 56
	s_lshl_b32 s15, s10, 2
	s_add_i32 s15, s15, 28
	v_cndmask_b32_e32 v2, v5, v2, vcc
	v_lshl_add_u64 v[26:27], v[26:27], 0, s[20:21]
	v_or_b32_e32 v4, 0, v3
	s_and_b32 s15, s15, 0x1e0
	v_and_b32_e32 v2, 0xffffff1f, v2
	v_cndmask_b32_e32 v9, v4, v3, vcc
	v_or_b32_e32 v8, s15, v2
	v_readfirstlane_b32 s20, v26
	v_readfirstlane_b32 s21, v27
	s_nop 4
	global_store_dwordx4 v48, v[8:11], s[20:21]
	global_store_dwordx4 v48, v[12:15], s[20:21] offset:16
	global_store_dwordx4 v48, v[16:19], s[20:21] offset:32
	;; [unrolled: 1-line block ×3, first 2 shown]
	s_and_saveexec_b64 s[20:21], s[0:1]
	s_cbranch_execz .LBB3_352
; %bb.345:                              ;   in Loop: Header=BB3_281 Depth=1
	global_load_dwordx2 v[12:13], v31, s[26:27] offset:32 sc0 sc1
	global_load_dwordx2 v[2:3], v31, s[26:27] offset:40
	v_mov_b32_e32 v10, s16
	v_mov_b32_e32 v11, s17
	s_waitcnt vmcnt(0)
	v_readfirstlane_b32 vcc_lo, v2
	v_readfirstlane_b32 vcc_hi, v3
	s_and_b64 vcc, vcc, s[16:17]
	s_mul_i32 s15, vcc_hi, 24
	s_mul_hi_u32 vcc_hi, vcc_lo, 24
	s_mul_i32 vcc_lo, vcc_lo, 24
	s_add_i32 vcc_hi, vcc_hi, s15
	v_lshl_add_u64 v[8:9], v[24:25], 0, vcc
	global_store_dwordx2 v[8:9], v[12:13], off
	buffer_wbl2 sc0 sc1
	s_waitcnt vmcnt(0)
	global_atomic_cmpswap_x2 v[4:5], v31, v[10:13], s[26:27] offset:32 sc0 sc1
	s_waitcnt vmcnt(0)
	v_cmp_ne_u64_e32 vcc, v[4:5], v[12:13]
	s_and_saveexec_b64 s[30:31], vcc
	s_cbranch_execz .LBB3_348
; %bb.346:                              ;   in Loop: Header=BB3_281 Depth=1
	s_mov_b64 s[34:35], 0
.LBB3_347:                              ;   Parent Loop BB3_281 Depth=1
                                        ; =>  This Inner Loop Header: Depth=2
	s_sleep 1
	global_store_dwordx2 v[8:9], v[4:5], off
	v_mov_b32_e32 v2, s16
	v_mov_b32_e32 v3, s17
	buffer_wbl2 sc0 sc1
	s_waitcnt vmcnt(0)
	global_atomic_cmpswap_x2 v[2:3], v31, v[2:5], s[26:27] offset:32 sc0 sc1
	s_waitcnt vmcnt(0)
	v_cmp_eq_u64_e32 vcc, v[2:3], v[4:5]
	s_or_b64 s[34:35], vcc, s[34:35]
	v_mov_b64_e32 v[4:5], v[2:3]
	s_andn2_b64 exec, exec, s[34:35]
	s_cbranch_execnz .LBB3_347
.LBB3_348:                              ;   in Loop: Header=BB3_281 Depth=1
	s_or_b64 exec, exec, s[30:31]
	global_load_dwordx2 v[2:3], v31, s[26:27] offset:16
	s_mov_b64 s[34:35], exec
	v_mbcnt_lo_u32_b32 v4, s34, 0
	v_mbcnt_hi_u32_b32 v4, s35, v4
	v_cmp_eq_u32_e32 vcc, 0, v4
	s_and_saveexec_b64 s[30:31], vcc
	s_cbranch_execz .LBB3_350
; %bb.349:                              ;   in Loop: Header=BB3_281 Depth=1
	s_bcnt1_i32_b64 s15, s[34:35]
	v_mov_b32_e32 v30, s15
	buffer_wbl2 sc0 sc1
	s_waitcnt vmcnt(0)
	global_atomic_add_x2 v[2:3], v[30:31], off offset:8 sc1
.LBB3_350:                              ;   in Loop: Header=BB3_281 Depth=1
	s_or_b64 exec, exec, s[30:31]
	s_waitcnt vmcnt(0)
	global_load_dwordx2 v[4:5], v[2:3], off offset:16
	s_waitcnt vmcnt(0)
	v_cmp_eq_u64_e32 vcc, 0, v[4:5]
	s_cbranch_vccnz .LBB3_352
; %bb.351:                              ;   in Loop: Header=BB3_281 Depth=1
	global_load_dword v30, v[2:3], off offset:24
	s_waitcnt vmcnt(0)
	v_and_b32_e32 v2, 0xffffff, v30
	s_nop 0
	v_readfirstlane_b32 m0, v2
	buffer_wbl2 sc0 sc1
	global_store_dwordx2 v[4:5], v[30:31], off sc0 sc1
	s_sendmsg sendmsg(MSG_INTERRUPT)
.LBB3_352:                              ;   in Loop: Header=BB3_281 Depth=1
	s_or_b64 exec, exec, s[20:21]
	v_mov_b32_e32 v49, v31
	v_lshl_add_u64 v[2:3], v[26:27], 0, v[48:49]
	s_branch .LBB3_356
.LBB3_353:                              ;   in Loop: Header=BB3_356 Depth=2
	s_or_b64 exec, exec, s[20:21]
	v_readfirstlane_b32 s15, v4
	s_cmp_eq_u32 s15, 0
	s_cbranch_scc1 .LBB3_355
; %bb.354:                              ;   in Loop: Header=BB3_356 Depth=2
	s_sleep 1
	s_cbranch_execnz .LBB3_356
	s_branch .LBB3_358
.LBB3_355:                              ;   in Loop: Header=BB3_281 Depth=1
	s_branch .LBB3_358
.LBB3_356:                              ;   Parent Loop BB3_281 Depth=1
                                        ; =>  This Inner Loop Header: Depth=2
	v_mov_b32_e32 v4, 1
	s_and_saveexec_b64 s[20:21], s[0:1]
	s_cbranch_execz .LBB3_353
; %bb.357:                              ;   in Loop: Header=BB3_356 Depth=2
	global_load_dword v4, v[32:33], off offset:20 sc0 sc1
	s_waitcnt vmcnt(0)
	buffer_inv sc0 sc1
	v_and_b32_e32 v4, 1, v4
	s_branch .LBB3_353
.LBB3_358:                              ;   in Loop: Header=BB3_281 Depth=1
	global_load_dwordx4 v[2:5], v[2:3], off
	s_and_saveexec_b64 s[20:21], s[0:1]
	s_cbranch_execz .LBB3_280
; %bb.359:                              ;   in Loop: Header=BB3_281 Depth=1
	global_load_dwordx2 v[4:5], v31, s[26:27] offset:40
	global_load_dwordx2 v[12:13], v31, s[26:27] offset:24 sc0 sc1
	global_load_dwordx2 v[14:15], v31, s[26:27]
	s_waitcnt vmcnt(2)
	v_lshl_add_u64 v[8:9], v[4:5], 0, 1
	v_lshl_add_u64 v[16:17], v[8:9], 0, s[16:17]
	v_cmp_eq_u64_e32 vcc, 0, v[16:17]
	s_waitcnt vmcnt(1)
	v_mov_b32_e32 v10, v12
	v_cndmask_b32_e32 v9, v17, v9, vcc
	v_cndmask_b32_e32 v8, v16, v8, vcc
	v_and_b32_e32 v5, v9, v5
	v_and_b32_e32 v4, v8, v4
	v_mul_lo_u32 v5, v5, 24
	v_mul_hi_u32 v11, v4, 24
	v_mul_lo_u32 v4, v4, 24
	v_add_u32_e32 v5, v11, v5
	s_waitcnt vmcnt(0)
	v_lshl_add_u64 v[4:5], v[14:15], 0, v[4:5]
	global_store_dwordx2 v[4:5], v[12:13], off
	v_mov_b32_e32 v11, v13
	buffer_wbl2 sc0 sc1
	s_waitcnt vmcnt(0)
	global_atomic_cmpswap_x2 v[10:11], v31, v[8:11], s[26:27] offset:24 sc0 sc1
	s_waitcnt vmcnt(0)
	v_cmp_ne_u64_e32 vcc, v[10:11], v[12:13]
	s_and_b64 exec, exec, vcc
	s_cbranch_execz .LBB3_280
; %bb.360:                              ;   in Loop: Header=BB3_281 Depth=1
	s_mov_b64 s[0:1], 0
.LBB3_361:                              ;   Parent Loop BB3_281 Depth=1
                                        ; =>  This Inner Loop Header: Depth=2
	s_sleep 1
	global_store_dwordx2 v[4:5], v[10:11], off
	buffer_wbl2 sc0 sc1
	s_waitcnt vmcnt(0)
	global_atomic_cmpswap_x2 v[12:13], v31, v[8:11], s[26:27] offset:24 sc0 sc1
	s_waitcnt vmcnt(0)
	v_cmp_eq_u64_e32 vcc, v[12:13], v[10:11]
	s_or_b64 s[0:1], vcc, s[0:1]
	v_mov_b64_e32 v[10:11], v[12:13]
	s_andn2_b64 exec, exec, s[0:1]
	s_cbranch_execnz .LBB3_361
	s_branch .LBB3_280
.LBB3_362:
	s_branch .LBB3_390
.LBB3_363:
                                        ; implicit-def: $vgpr2_vgpr3
	s_cbranch_execz .LBB3_390
; %bb.364:
	v_readfirstlane_b32 s0, v37
	s_waitcnt vmcnt(0)
	v_mov_b64_e32 v[2:3], 0
	v_cmp_eq_u32_e64 s[0:1], s0, v37
	s_and_saveexec_b64 s[4:5], s[0:1]
	s_cbranch_execz .LBB3_370
; %bb.365:
	v_mov_b32_e32 v4, 0
	global_load_dwordx2 v[8:9], v4, s[26:27] offset:24 sc0 sc1
	s_waitcnt vmcnt(0)
	buffer_inv sc0 sc1
	global_load_dwordx2 v[2:3], v4, s[26:27] offset:40
	global_load_dwordx2 v[6:7], v4, s[26:27]
	s_waitcnt vmcnt(1)
	v_and_b32_e32 v2, v2, v8
	v_and_b32_e32 v3, v3, v9
	v_mul_lo_u32 v3, v3, 24
	v_mul_hi_u32 v5, v2, 24
	v_add_u32_e32 v3, v5, v3
	v_mul_lo_u32 v2, v2, 24
	s_waitcnt vmcnt(0)
	v_lshl_add_u64 v[2:3], v[6:7], 0, v[2:3]
	global_load_dwordx2 v[6:7], v[2:3], off sc0 sc1
	s_waitcnt vmcnt(0)
	global_atomic_cmpswap_x2 v[2:3], v4, v[6:9], s[26:27] offset:24 sc0 sc1
	s_waitcnt vmcnt(0)
	buffer_inv sc0 sc1
	v_cmp_ne_u64_e32 vcc, v[2:3], v[8:9]
	s_and_saveexec_b64 s[6:7], vcc
	s_cbranch_execz .LBB3_369
; %bb.366:
	s_mov_b64 s[10:11], 0
.LBB3_367:                              ; =>This Inner Loop Header: Depth=1
	s_sleep 1
	global_load_dwordx2 v[6:7], v4, s[26:27] offset:40
	global_load_dwordx2 v[10:11], v4, s[26:27]
	v_mov_b64_e32 v[8:9], v[2:3]
	s_waitcnt vmcnt(1)
	v_and_b32_e32 v2, v6, v8
	s_waitcnt vmcnt(0)
	v_mad_u64_u32 v[2:3], s[16:17], v2, 24, v[10:11]
	v_and_b32_e32 v5, v7, v9
	v_mov_b32_e32 v6, v3
	v_mad_u64_u32 v[6:7], s[16:17], v5, 24, v[6:7]
	v_mov_b32_e32 v3, v6
	global_load_dwordx2 v[6:7], v[2:3], off sc0 sc1
	s_waitcnt vmcnt(0)
	global_atomic_cmpswap_x2 v[2:3], v4, v[6:9], s[26:27] offset:24 sc0 sc1
	s_waitcnt vmcnt(0)
	buffer_inv sc0 sc1
	v_cmp_eq_u64_e32 vcc, v[2:3], v[8:9]
	s_or_b64 s[10:11], vcc, s[10:11]
	s_andn2_b64 exec, exec, s[10:11]
	s_cbranch_execnz .LBB3_367
; %bb.368:
	s_or_b64 exec, exec, s[10:11]
.LBB3_369:
	s_or_b64 exec, exec, s[6:7]
.LBB3_370:
	s_or_b64 exec, exec, s[4:5]
	v_mov_b32_e32 v49, 0
	global_load_dwordx2 v[8:9], v49, s[26:27] offset:40
	global_load_dwordx4 v[4:7], v49, s[26:27]
	v_readfirstlane_b32 s4, v2
	v_readfirstlane_b32 s5, v3
	s_mov_b64 s[6:7], exec
	s_waitcnt vmcnt(1)
	v_readfirstlane_b32 s10, v8
	v_readfirstlane_b32 s11, v9
	s_and_b64 s[10:11], s[4:5], s[10:11]
	s_mul_i32 s15, s11, 24
	s_mul_hi_u32 s16, s10, 24
	s_add_i32 s17, s16, s15
	s_mul_i32 s16, s10, 24
	s_waitcnt vmcnt(0)
	v_lshl_add_u64 v[8:9], v[4:5], 0, s[16:17]
	s_and_saveexec_b64 s[16:17], s[0:1]
	s_cbranch_execz .LBB3_372
; %bb.371:
	v_mov_b64_e32 v[10:11], s[6:7]
	v_mov_b32_e32 v12, 2
	v_mov_b32_e32 v13, 1
	global_store_dwordx4 v[8:9], v[10:13], off offset:8
.LBB3_372:
	s_or_b64 exec, exec, s[16:17]
	s_lshl_b64 s[6:7], s[10:11], 12
	v_lshl_add_u64 v[6:7], v[6:7], 0, s[6:7]
	s_movk_i32 s6, 0xff1f
	s_mov_b32 s36, 0
	v_and_or_b32 v0, v0, s6, 32
	v_mov_b32_e32 v2, v49
	v_mov_b32_e32 v3, v49
	v_readfirstlane_b32 s6, v6
	v_readfirstlane_b32 s7, v7
	s_mov_b32 s37, s36
	s_mov_b32 s38, s36
	;; [unrolled: 1-line block ×3, first 2 shown]
	s_nop 1
	global_store_dwordx4 v48, v[0:3], s[6:7]
	s_nop 1
	v_mov_b64_e32 v[0:1], s[36:37]
	v_mov_b64_e32 v[2:3], s[38:39]
	global_store_dwordx4 v48, v[0:3], s[6:7] offset:16
	global_store_dwordx4 v48, v[0:3], s[6:7] offset:32
	;; [unrolled: 1-line block ×3, first 2 shown]
	s_and_saveexec_b64 s[6:7], s[0:1]
	s_cbranch_execz .LBB3_380
; %bb.373:
	v_mov_b32_e32 v10, 0
	global_load_dwordx2 v[14:15], v10, s[26:27] offset:32 sc0 sc1
	global_load_dwordx2 v[0:1], v10, s[26:27] offset:40
	v_mov_b32_e32 v12, s4
	v_mov_b32_e32 v13, s5
	s_waitcnt vmcnt(0)
	v_readfirstlane_b32 s10, v0
	v_readfirstlane_b32 s11, v1
	s_and_b64 s[10:11], s[10:11], s[4:5]
	s_mul_i32 s11, s11, 24
	s_mul_hi_u32 s15, s10, 24
	s_mul_i32 s10, s10, 24
	s_add_i32 s11, s15, s11
	v_lshl_add_u64 v[4:5], v[4:5], 0, s[10:11]
	global_store_dwordx2 v[4:5], v[14:15], off
	buffer_wbl2 sc0 sc1
	s_waitcnt vmcnt(0)
	global_atomic_cmpswap_x2 v[2:3], v10, v[12:15], s[26:27] offset:32 sc0 sc1
	s_waitcnt vmcnt(0)
	v_cmp_ne_u64_e32 vcc, v[2:3], v[14:15]
	s_and_saveexec_b64 s[10:11], vcc
	s_cbranch_execz .LBB3_376
; %bb.374:
	s_mov_b64 s[16:17], 0
.LBB3_375:                              ; =>This Inner Loop Header: Depth=1
	s_sleep 1
	global_store_dwordx2 v[4:5], v[2:3], off
	v_mov_b32_e32 v0, s4
	v_mov_b32_e32 v1, s5
	buffer_wbl2 sc0 sc1
	s_waitcnt vmcnt(0)
	global_atomic_cmpswap_x2 v[0:1], v10, v[0:3], s[26:27] offset:32 sc0 sc1
	s_waitcnt vmcnt(0)
	v_cmp_eq_u64_e32 vcc, v[0:1], v[2:3]
	s_or_b64 s[16:17], vcc, s[16:17]
	v_mov_b64_e32 v[2:3], v[0:1]
	s_andn2_b64 exec, exec, s[16:17]
	s_cbranch_execnz .LBB3_375
.LBB3_376:
	s_or_b64 exec, exec, s[10:11]
	v_mov_b32_e32 v3, 0
	global_load_dwordx2 v[0:1], v3, s[26:27] offset:16
	s_mov_b64 s[10:11], exec
	v_mbcnt_lo_u32_b32 v2, s10, 0
	v_mbcnt_hi_u32_b32 v2, s11, v2
	v_cmp_eq_u32_e32 vcc, 0, v2
	s_and_saveexec_b64 s[16:17], vcc
	s_cbranch_execz .LBB3_378
; %bb.377:
	s_bcnt1_i32_b64 s10, s[10:11]
	v_mov_b32_e32 v2, s10
	buffer_wbl2 sc0 sc1
	s_waitcnt vmcnt(0)
	global_atomic_add_x2 v[0:1], v[2:3], off offset:8 sc1
.LBB3_378:
	s_or_b64 exec, exec, s[16:17]
	s_waitcnt vmcnt(0)
	global_load_dwordx2 v[2:3], v[0:1], off offset:16
	s_waitcnt vmcnt(0)
	v_cmp_eq_u64_e32 vcc, 0, v[2:3]
	s_cbranch_vccnz .LBB3_380
; %bb.379:
	global_load_dword v0, v[0:1], off offset:24
	v_mov_b32_e32 v1, 0
	buffer_wbl2 sc0 sc1
	s_waitcnt vmcnt(0)
	global_store_dwordx2 v[2:3], v[0:1], off sc0 sc1
	v_and_b32_e32 v0, 0xffffff, v0
	s_nop 0
	v_readfirstlane_b32 m0, v0
	s_sendmsg sendmsg(MSG_INTERRUPT)
.LBB3_380:
	s_or_b64 exec, exec, s[6:7]
	v_lshl_add_u64 v[0:1], v[6:7], 0, v[48:49]
	s_branch .LBB3_384
.LBB3_381:                              ;   in Loop: Header=BB3_384 Depth=1
	s_or_b64 exec, exec, s[6:7]
	v_readfirstlane_b32 s6, v2
	s_cmp_eq_u32 s6, 0
	s_cbranch_scc1 .LBB3_383
; %bb.382:                              ;   in Loop: Header=BB3_384 Depth=1
	s_sleep 1
	s_cbranch_execnz .LBB3_384
	s_branch .LBB3_386
.LBB3_383:
	s_branch .LBB3_386
.LBB3_384:                              ; =>This Inner Loop Header: Depth=1
	v_mov_b32_e32 v2, 1
	s_and_saveexec_b64 s[6:7], s[0:1]
	s_cbranch_execz .LBB3_381
; %bb.385:                              ;   in Loop: Header=BB3_384 Depth=1
	global_load_dword v2, v[8:9], off offset:20 sc0 sc1
	s_waitcnt vmcnt(0)
	buffer_inv sc0 sc1
	v_and_b32_e32 v2, 1, v2
	s_branch .LBB3_381
.LBB3_386:
	global_load_dwordx2 v[2:3], v[0:1], off
	s_and_saveexec_b64 s[6:7], s[0:1]
	s_cbranch_execz .LBB3_389
; %bb.387:
	v_mov_b32_e32 v8, 0
	global_load_dwordx2 v[0:1], v8, s[26:27] offset:40
	global_load_dwordx2 v[10:11], v8, s[26:27] offset:24 sc0 sc1
	global_load_dwordx2 v[12:13], v8, s[26:27]
	s_mov_b64 s[0:1], 0
	s_waitcnt vmcnt(2)
	v_lshl_add_u64 v[4:5], v[0:1], 0, 1
	v_lshl_add_u64 v[14:15], v[4:5], 0, s[4:5]
	v_cmp_eq_u64_e32 vcc, 0, v[14:15]
	s_waitcnt vmcnt(1)
	v_mov_b32_e32 v6, v10
	v_cndmask_b32_e32 v5, v15, v5, vcc
	v_cndmask_b32_e32 v4, v14, v4, vcc
	v_and_b32_e32 v1, v5, v1
	v_and_b32_e32 v0, v4, v0
	v_mul_lo_u32 v1, v1, 24
	v_mul_hi_u32 v7, v0, 24
	v_mul_lo_u32 v0, v0, 24
	v_add_u32_e32 v1, v7, v1
	s_waitcnt vmcnt(0)
	v_lshl_add_u64 v[0:1], v[12:13], 0, v[0:1]
	global_store_dwordx2 v[0:1], v[10:11], off
	v_mov_b32_e32 v7, v11
	buffer_wbl2 sc0 sc1
	s_waitcnt vmcnt(0)
	global_atomic_cmpswap_x2 v[6:7], v8, v[4:7], s[26:27] offset:24 sc0 sc1
	s_waitcnt vmcnt(0)
	v_cmp_ne_u64_e32 vcc, v[6:7], v[10:11]
	s_and_b64 exec, exec, vcc
	s_cbranch_execz .LBB3_389
.LBB3_388:                              ; =>This Inner Loop Header: Depth=1
	s_sleep 1
	global_store_dwordx2 v[0:1], v[6:7], off
	buffer_wbl2 sc0 sc1
	s_waitcnt vmcnt(0)
	global_atomic_cmpswap_x2 v[10:11], v8, v[4:7], s[26:27] offset:24 sc0 sc1
	s_waitcnt vmcnt(0)
	v_cmp_eq_u64_e32 vcc, v[10:11], v[6:7]
	s_or_b64 s[0:1], vcc, s[0:1]
	v_mov_b64_e32 v[6:7], v[10:11]
	s_andn2_b64 exec, exec, s[0:1]
	s_cbranch_execnz .LBB3_388
.LBB3_389:
	s_or_b64 exec, exec, s[6:7]
.LBB3_390:
	v_readfirstlane_b32 s0, v37
	s_waitcnt vmcnt(0)
	v_mov_b64_e32 v[0:1], 0
	v_cmp_eq_u32_e64 s[0:1], s0, v37
	s_and_saveexec_b64 s[4:5], s[0:1]
	s_cbranch_execz .LBB3_396
; %bb.391:
	v_mov_b32_e32 v4, 0
	global_load_dwordx2 v[8:9], v4, s[26:27] offset:24 sc0 sc1
	s_waitcnt vmcnt(0)
	buffer_inv sc0 sc1
	global_load_dwordx2 v[0:1], v4, s[26:27] offset:40
	global_load_dwordx2 v[6:7], v4, s[26:27]
	s_waitcnt vmcnt(1)
	v_and_b32_e32 v0, v0, v8
	v_and_b32_e32 v1, v1, v9
	v_mul_lo_u32 v1, v1, 24
	v_mul_hi_u32 v5, v0, 24
	v_add_u32_e32 v1, v5, v1
	v_mul_lo_u32 v0, v0, 24
	s_waitcnt vmcnt(0)
	v_lshl_add_u64 v[0:1], v[6:7], 0, v[0:1]
	global_load_dwordx2 v[6:7], v[0:1], off sc0 sc1
	s_waitcnt vmcnt(0)
	global_atomic_cmpswap_x2 v[0:1], v4, v[6:9], s[26:27] offset:24 sc0 sc1
	s_waitcnt vmcnt(0)
	buffer_inv sc0 sc1
	v_cmp_ne_u64_e32 vcc, v[0:1], v[8:9]
	s_and_saveexec_b64 s[6:7], vcc
	s_cbranch_execz .LBB3_395
; %bb.392:
	s_mov_b64 s[10:11], 0
.LBB3_393:                              ; =>This Inner Loop Header: Depth=1
	s_sleep 1
	global_load_dwordx2 v[6:7], v4, s[26:27] offset:40
	global_load_dwordx2 v[10:11], v4, s[26:27]
	v_mov_b64_e32 v[8:9], v[0:1]
	s_waitcnt vmcnt(1)
	v_and_b32_e32 v0, v6, v8
	s_waitcnt vmcnt(0)
	v_mad_u64_u32 v[0:1], s[16:17], v0, 24, v[10:11]
	v_and_b32_e32 v5, v7, v9
	v_mov_b32_e32 v6, v1
	v_mad_u64_u32 v[6:7], s[16:17], v5, 24, v[6:7]
	v_mov_b32_e32 v1, v6
	global_load_dwordx2 v[6:7], v[0:1], off sc0 sc1
	s_waitcnt vmcnt(0)
	global_atomic_cmpswap_x2 v[0:1], v4, v[6:9], s[26:27] offset:24 sc0 sc1
	s_waitcnt vmcnt(0)
	buffer_inv sc0 sc1
	v_cmp_eq_u64_e32 vcc, v[0:1], v[8:9]
	s_or_b64 s[10:11], vcc, s[10:11]
	s_andn2_b64 exec, exec, s[10:11]
	s_cbranch_execnz .LBB3_393
; %bb.394:
	s_or_b64 exec, exec, s[10:11]
.LBB3_395:
	s_or_b64 exec, exec, s[6:7]
.LBB3_396:
	s_or_b64 exec, exec, s[4:5]
	v_mov_b32_e32 v5, 0
	global_load_dwordx2 v[10:11], v5, s[26:27] offset:40
	global_load_dwordx4 v[6:9], v5, s[26:27]
	v_readfirstlane_b32 s4, v0
	v_readfirstlane_b32 s5, v1
	s_mov_b64 s[6:7], exec
	s_waitcnt vmcnt(1)
	v_readfirstlane_b32 s10, v10
	v_readfirstlane_b32 s11, v11
	s_and_b64 s[10:11], s[4:5], s[10:11]
	s_mul_i32 s15, s11, 24
	s_mul_hi_u32 s16, s10, 24
	s_add_i32 s17, s16, s15
	s_mul_i32 s16, s10, 24
	s_waitcnt vmcnt(0)
	v_lshl_add_u64 v[10:11], v[6:7], 0, s[16:17]
	s_and_saveexec_b64 s[16:17], s[0:1]
	s_cbranch_execz .LBB3_398
; %bb.397:
	v_mov_b64_e32 v[12:13], s[6:7]
	v_mov_b32_e32 v14, 2
	v_mov_b32_e32 v15, 1
	global_store_dwordx4 v[10:11], v[12:15], off offset:8
.LBB3_398:
	s_or_b64 exec, exec, s[16:17]
	s_lshl_b64 s[6:7], s[10:11], 12
	v_lshl_add_u64 v[0:1], v[8:9], 0, s[6:7]
	s_movk_i32 s6, 0xff1d
	s_mov_b32 s36, 0
	v_and_or_b32 v2, v2, s6, 34
	v_mov_b32_e32 v4, 10
	v_readfirstlane_b32 s6, v0
	v_readfirstlane_b32 s7, v1
	s_mov_b32 s37, s36
	s_mov_b32 s38, s36
	;; [unrolled: 1-line block ×3, first 2 shown]
	s_nop 1
	global_store_dwordx4 v48, v[2:5], s[6:7]
	v_mov_b64_e32 v[0:1], s[36:37]
	s_nop 0
	v_mov_b64_e32 v[2:3], s[38:39]
	global_store_dwordx4 v48, v[0:3], s[6:7] offset:16
	global_store_dwordx4 v48, v[0:3], s[6:7] offset:32
	global_store_dwordx4 v48, v[0:3], s[6:7] offset:48
	s_and_saveexec_b64 s[6:7], s[0:1]
	s_cbranch_execz .LBB3_406
; %bb.399:
	v_mov_b32_e32 v8, 0
	global_load_dwordx2 v[14:15], v8, s[26:27] offset:32 sc0 sc1
	global_load_dwordx2 v[0:1], v8, s[26:27] offset:40
	v_mov_b32_e32 v12, s4
	v_mov_b32_e32 v13, s5
	s_waitcnt vmcnt(0)
	v_readfirstlane_b32 s10, v0
	v_readfirstlane_b32 s11, v1
	s_and_b64 s[10:11], s[10:11], s[4:5]
	s_mul_i32 s11, s11, 24
	s_mul_hi_u32 s15, s10, 24
	s_mul_i32 s10, s10, 24
	s_add_i32 s11, s15, s11
	v_lshl_add_u64 v[4:5], v[6:7], 0, s[10:11]
	global_store_dwordx2 v[4:5], v[14:15], off
	buffer_wbl2 sc0 sc1
	s_waitcnt vmcnt(0)
	global_atomic_cmpswap_x2 v[2:3], v8, v[12:15], s[26:27] offset:32 sc0 sc1
	s_waitcnt vmcnt(0)
	v_cmp_ne_u64_e32 vcc, v[2:3], v[14:15]
	s_and_saveexec_b64 s[10:11], vcc
	s_cbranch_execz .LBB3_402
; %bb.400:
	s_mov_b64 s[16:17], 0
.LBB3_401:                              ; =>This Inner Loop Header: Depth=1
	s_sleep 1
	global_store_dwordx2 v[4:5], v[2:3], off
	v_mov_b32_e32 v0, s4
	v_mov_b32_e32 v1, s5
	buffer_wbl2 sc0 sc1
	s_waitcnt vmcnt(0)
	global_atomic_cmpswap_x2 v[0:1], v8, v[0:3], s[26:27] offset:32 sc0 sc1
	s_waitcnt vmcnt(0)
	v_cmp_eq_u64_e32 vcc, v[0:1], v[2:3]
	s_or_b64 s[16:17], vcc, s[16:17]
	v_mov_b64_e32 v[2:3], v[0:1]
	s_andn2_b64 exec, exec, s[16:17]
	s_cbranch_execnz .LBB3_401
.LBB3_402:
	s_or_b64 exec, exec, s[10:11]
	v_mov_b32_e32 v3, 0
	global_load_dwordx2 v[0:1], v3, s[26:27] offset:16
	s_mov_b64 s[10:11], exec
	v_mbcnt_lo_u32_b32 v2, s10, 0
	v_mbcnt_hi_u32_b32 v2, s11, v2
	v_cmp_eq_u32_e32 vcc, 0, v2
	s_and_saveexec_b64 s[16:17], vcc
	s_cbranch_execz .LBB3_404
; %bb.403:
	s_bcnt1_i32_b64 s10, s[10:11]
	v_mov_b32_e32 v2, s10
	buffer_wbl2 sc0 sc1
	s_waitcnt vmcnt(0)
	global_atomic_add_x2 v[0:1], v[2:3], off offset:8 sc1
.LBB3_404:
	s_or_b64 exec, exec, s[16:17]
	s_waitcnt vmcnt(0)
	global_load_dwordx2 v[2:3], v[0:1], off offset:16
	s_waitcnt vmcnt(0)
	v_cmp_eq_u64_e32 vcc, 0, v[2:3]
	s_cbranch_vccnz .LBB3_406
; %bb.405:
	global_load_dword v0, v[0:1], off offset:24
	v_mov_b32_e32 v1, 0
	buffer_wbl2 sc0 sc1
	s_waitcnt vmcnt(0)
	global_store_dwordx2 v[2:3], v[0:1], off sc0 sc1
	v_and_b32_e32 v0, 0xffffff, v0
	s_nop 0
	v_readfirstlane_b32 m0, v0
	s_sendmsg sendmsg(MSG_INTERRUPT)
.LBB3_406:
	s_or_b64 exec, exec, s[6:7]
	s_branch .LBB3_410
.LBB3_407:                              ;   in Loop: Header=BB3_410 Depth=1
	s_or_b64 exec, exec, s[6:7]
	v_readfirstlane_b32 s6, v0
	s_cmp_eq_u32 s6, 0
	s_cbranch_scc1 .LBB3_409
; %bb.408:                              ;   in Loop: Header=BB3_410 Depth=1
	s_sleep 1
	s_cbranch_execnz .LBB3_410
	s_branch .LBB3_412
.LBB3_409:
	s_branch .LBB3_412
.LBB3_410:                              ; =>This Inner Loop Header: Depth=1
	v_mov_b32_e32 v0, 1
	s_and_saveexec_b64 s[6:7], s[0:1]
	s_cbranch_execz .LBB3_407
; %bb.411:                              ;   in Loop: Header=BB3_410 Depth=1
	global_load_dword v0, v[10:11], off offset:20 sc0 sc1
	s_waitcnt vmcnt(0)
	buffer_inv sc0 sc1
	v_and_b32_e32 v0, 1, v0
	s_branch .LBB3_407
.LBB3_412:
	s_and_saveexec_b64 s[6:7], s[0:1]
	s_cbranch_execz .LBB3_415
; %bb.413:
	v_mov_b32_e32 v6, 0
	global_load_dwordx2 v[4:5], v6, s[26:27] offset:40
	global_load_dwordx2 v[8:9], v6, s[26:27] offset:24 sc0 sc1
	global_load_dwordx2 v[10:11], v6, s[26:27]
	s_mov_b64 s[0:1], 0
	s_waitcnt vmcnt(2)
	v_lshl_add_u64 v[0:1], v[4:5], 0, 1
	v_lshl_add_u64 v[12:13], v[0:1], 0, s[4:5]
	v_cmp_eq_u64_e32 vcc, 0, v[12:13]
	s_waitcnt vmcnt(1)
	v_mov_b32_e32 v2, v8
	v_cndmask_b32_e32 v1, v13, v1, vcc
	v_cndmask_b32_e32 v0, v12, v0, vcc
	v_and_b32_e32 v3, v1, v5
	v_and_b32_e32 v4, v0, v4
	v_mul_lo_u32 v3, v3, 24
	v_mul_hi_u32 v5, v4, 24
	v_mul_lo_u32 v4, v4, 24
	v_add_u32_e32 v5, v5, v3
	s_waitcnt vmcnt(0)
	v_lshl_add_u64 v[4:5], v[10:11], 0, v[4:5]
	global_store_dwordx2 v[4:5], v[8:9], off
	v_mov_b32_e32 v3, v9
	buffer_wbl2 sc0 sc1
	s_waitcnt vmcnt(0)
	global_atomic_cmpswap_x2 v[2:3], v6, v[0:3], s[26:27] offset:24 sc0 sc1
	s_waitcnt vmcnt(0)
	v_cmp_ne_u64_e32 vcc, v[2:3], v[8:9]
	s_and_b64 exec, exec, vcc
	s_cbranch_execz .LBB3_415
.LBB3_414:                              ; =>This Inner Loop Header: Depth=1
	s_sleep 1
	global_store_dwordx2 v[4:5], v[2:3], off
	buffer_wbl2 sc0 sc1
	s_waitcnt vmcnt(0)
	global_atomic_cmpswap_x2 v[8:9], v6, v[0:3], s[26:27] offset:24 sc0 sc1
	s_waitcnt vmcnt(0)
	v_cmp_eq_u64_e32 vcc, v[8:9], v[2:3]
	s_or_b64 s[0:1], vcc, s[0:1]
	v_mov_b64_e32 v[2:3], v[8:9]
	s_andn2_b64 exec, exec, s[0:1]
	s_cbranch_execnz .LBB3_414
.LBB3_415:
	s_or_b64 exec, exec, s[6:7]
	v_readfirstlane_b32 s0, v37
	v_mov_b64_e32 v[4:5], 0
	s_nop 0
	v_cmp_eq_u32_e64 s[0:1], s0, v37
	s_and_saveexec_b64 s[4:5], s[0:1]
	s_cbranch_execz .LBB3_421
; %bb.416:
	v_mov_b32_e32 v0, 0
	global_load_dwordx2 v[6:7], v0, s[26:27] offset:24 sc0 sc1
	s_waitcnt vmcnt(0)
	buffer_inv sc0 sc1
	global_load_dwordx2 v[2:3], v0, s[26:27] offset:40
	global_load_dwordx2 v[4:5], v0, s[26:27]
	s_waitcnt vmcnt(1)
	v_and_b32_e32 v1, v2, v6
	v_and_b32_e32 v2, v3, v7
	v_mul_lo_u32 v2, v2, 24
	v_mul_hi_u32 v3, v1, 24
	v_add_u32_e32 v3, v3, v2
	v_mul_lo_u32 v2, v1, 24
	s_waitcnt vmcnt(0)
	v_lshl_add_u64 v[2:3], v[4:5], 0, v[2:3]
	global_load_dwordx2 v[4:5], v[2:3], off sc0 sc1
	s_waitcnt vmcnt(0)
	global_atomic_cmpswap_x2 v[4:5], v0, v[4:7], s[26:27] offset:24 sc0 sc1
	s_waitcnt vmcnt(0)
	buffer_inv sc0 sc1
	v_cmp_ne_u64_e32 vcc, v[4:5], v[6:7]
	s_and_saveexec_b64 s[6:7], vcc
	s_cbranch_execz .LBB3_420
; %bb.417:
	s_mov_b64 s[10:11], 0
.LBB3_418:                              ; =>This Inner Loop Header: Depth=1
	s_sleep 1
	global_load_dwordx2 v[2:3], v0, s[26:27] offset:40
	global_load_dwordx2 v[8:9], v0, s[26:27]
	v_mov_b64_e32 v[6:7], v[4:5]
	s_waitcnt vmcnt(1)
	v_and_b32_e32 v2, v2, v6
	v_and_b32_e32 v1, v3, v7
	s_waitcnt vmcnt(0)
	v_mad_u64_u32 v[2:3], s[16:17], v2, 24, v[8:9]
	v_mov_b32_e32 v4, v3
	v_mad_u64_u32 v[4:5], s[16:17], v1, 24, v[4:5]
	v_mov_b32_e32 v3, v4
	global_load_dwordx2 v[4:5], v[2:3], off sc0 sc1
	s_waitcnt vmcnt(0)
	global_atomic_cmpswap_x2 v[4:5], v0, v[4:7], s[26:27] offset:24 sc0 sc1
	s_waitcnt vmcnt(0)
	buffer_inv sc0 sc1
	v_cmp_eq_u64_e32 vcc, v[4:5], v[6:7]
	s_or_b64 s[10:11], vcc, s[10:11]
	s_andn2_b64 exec, exec, s[10:11]
	s_cbranch_execnz .LBB3_418
; %bb.419:
	s_or_b64 exec, exec, s[10:11]
.LBB3_420:
	s_or_b64 exec, exec, s[6:7]
.LBB3_421:
	s_or_b64 exec, exec, s[4:5]
	v_mov_b32_e32 v49, 0
	global_load_dwordx2 v[6:7], v49, s[26:27] offset:40
	global_load_dwordx4 v[0:3], v49, s[26:27]
	v_readfirstlane_b32 s4, v4
	v_readfirstlane_b32 s5, v5
	s_mov_b64 s[6:7], exec
	s_waitcnt vmcnt(1)
	v_readfirstlane_b32 s10, v6
	v_readfirstlane_b32 s11, v7
	s_and_b64 s[10:11], s[4:5], s[10:11]
	s_mul_i32 s15, s11, 24
	s_mul_hi_u32 s16, s10, 24
	s_add_i32 s17, s16, s15
	s_mul_i32 s16, s10, 24
	s_waitcnt vmcnt(0)
	v_lshl_add_u64 v[4:5], v[0:1], 0, s[16:17]
	s_and_saveexec_b64 s[16:17], s[0:1]
	s_cbranch_execz .LBB3_423
; %bb.422:
	v_mov_b64_e32 v[6:7], s[6:7]
	v_mov_b32_e32 v8, 2
	v_mov_b32_e32 v9, 1
	global_store_dwordx4 v[4:5], v[6:9], off offset:8
.LBB3_423:
	s_or_b64 exec, exec, s[16:17]
	s_lshl_b64 s[6:7], s[10:11], 12
	v_lshl_add_u64 v[6:7], v[2:3], 0, s[6:7]
	s_mov_b32 s36, 0
	v_mov_b32_e32 v8, 33
	v_mov_b32_e32 v9, v49
	;; [unrolled: 1-line block ×4, first 2 shown]
	v_readfirstlane_b32 s6, v6
	v_readfirstlane_b32 s7, v7
	s_mov_b32 s37, s36
	s_mov_b32 s38, s36
	s_mov_b32 s39, s36
	s_nop 1
	global_store_dwordx4 v48, v[8:11], s[6:7]
	s_nop 1
	v_mov_b64_e32 v[8:9], s[36:37]
	v_mov_b64_e32 v[10:11], s[38:39]
	global_store_dwordx4 v48, v[8:11], s[6:7] offset:16
	global_store_dwordx4 v48, v[8:11], s[6:7] offset:32
	;; [unrolled: 1-line block ×3, first 2 shown]
	s_and_saveexec_b64 s[6:7], s[0:1]
	s_cbranch_execz .LBB3_431
; %bb.424:
	v_mov_b32_e32 v10, 0
	global_load_dwordx2 v[14:15], v10, s[26:27] offset:32 sc0 sc1
	global_load_dwordx2 v[2:3], v10, s[26:27] offset:40
	v_mov_b32_e32 v12, s4
	v_mov_b32_e32 v13, s5
	s_waitcnt vmcnt(0)
	v_readfirstlane_b32 s10, v2
	v_readfirstlane_b32 s11, v3
	s_and_b64 s[10:11], s[10:11], s[4:5]
	s_mul_i32 s11, s11, 24
	s_mul_hi_u32 s15, s10, 24
	s_mul_i32 s10, s10, 24
	s_add_i32 s11, s15, s11
	v_lshl_add_u64 v[8:9], v[0:1], 0, s[10:11]
	global_store_dwordx2 v[8:9], v[14:15], off
	buffer_wbl2 sc0 sc1
	s_waitcnt vmcnt(0)
	global_atomic_cmpswap_x2 v[2:3], v10, v[12:15], s[26:27] offset:32 sc0 sc1
	s_waitcnt vmcnt(0)
	v_cmp_ne_u64_e32 vcc, v[2:3], v[14:15]
	s_and_saveexec_b64 s[10:11], vcc
	s_cbranch_execz .LBB3_427
; %bb.425:
	s_mov_b64 s[16:17], 0
.LBB3_426:                              ; =>This Inner Loop Header: Depth=1
	s_sleep 1
	global_store_dwordx2 v[8:9], v[2:3], off
	v_mov_b32_e32 v0, s4
	v_mov_b32_e32 v1, s5
	buffer_wbl2 sc0 sc1
	s_waitcnt vmcnt(0)
	global_atomic_cmpswap_x2 v[0:1], v10, v[0:3], s[26:27] offset:32 sc0 sc1
	s_waitcnt vmcnt(0)
	v_cmp_eq_u64_e32 vcc, v[0:1], v[2:3]
	s_or_b64 s[16:17], vcc, s[16:17]
	v_mov_b64_e32 v[2:3], v[0:1]
	s_andn2_b64 exec, exec, s[16:17]
	s_cbranch_execnz .LBB3_426
.LBB3_427:
	s_or_b64 exec, exec, s[10:11]
	v_mov_b32_e32 v3, 0
	global_load_dwordx2 v[0:1], v3, s[26:27] offset:16
	s_mov_b64 s[10:11], exec
	v_mbcnt_lo_u32_b32 v2, s10, 0
	v_mbcnt_hi_u32_b32 v2, s11, v2
	v_cmp_eq_u32_e32 vcc, 0, v2
	s_and_saveexec_b64 s[16:17], vcc
	s_cbranch_execz .LBB3_429
; %bb.428:
	s_bcnt1_i32_b64 s10, s[10:11]
	v_mov_b32_e32 v2, s10
	buffer_wbl2 sc0 sc1
	s_waitcnt vmcnt(0)
	global_atomic_add_x2 v[0:1], v[2:3], off offset:8 sc1
.LBB3_429:
	s_or_b64 exec, exec, s[16:17]
	s_waitcnt vmcnt(0)
	global_load_dwordx2 v[2:3], v[0:1], off offset:16
	s_waitcnt vmcnt(0)
	v_cmp_eq_u64_e32 vcc, 0, v[2:3]
	s_cbranch_vccnz .LBB3_431
; %bb.430:
	global_load_dword v0, v[0:1], off offset:24
	v_mov_b32_e32 v1, 0
	buffer_wbl2 sc0 sc1
	s_waitcnt vmcnt(0)
	global_store_dwordx2 v[2:3], v[0:1], off sc0 sc1
	v_and_b32_e32 v0, 0xffffff, v0
	s_nop 0
	v_readfirstlane_b32 m0, v0
	s_sendmsg sendmsg(MSG_INTERRUPT)
.LBB3_431:
	s_or_b64 exec, exec, s[6:7]
	v_lshl_add_u64 v[0:1], v[6:7], 0, v[48:49]
	s_branch .LBB3_435
.LBB3_432:                              ;   in Loop: Header=BB3_435 Depth=1
	s_or_b64 exec, exec, s[6:7]
	v_readfirstlane_b32 s6, v2
	s_cmp_eq_u32 s6, 0
	s_cbranch_scc1 .LBB3_434
; %bb.433:                              ;   in Loop: Header=BB3_435 Depth=1
	s_sleep 1
	s_cbranch_execnz .LBB3_435
	s_branch .LBB3_437
.LBB3_434:
	s_branch .LBB3_437
.LBB3_435:                              ; =>This Inner Loop Header: Depth=1
	v_mov_b32_e32 v2, 1
	s_and_saveexec_b64 s[6:7], s[0:1]
	s_cbranch_execz .LBB3_432
; %bb.436:                              ;   in Loop: Header=BB3_435 Depth=1
	global_load_dword v2, v[4:5], off offset:20 sc0 sc1
	s_waitcnt vmcnt(0)
	buffer_inv sc0 sc1
	v_and_b32_e32 v2, 1, v2
	s_branch .LBB3_432
.LBB3_437:
	global_load_dwordx2 v[4:5], v[0:1], off
	s_and_saveexec_b64 s[6:7], s[0:1]
	s_cbranch_execz .LBB3_440
; %bb.438:
	v_mov_b32_e32 v8, 0
	global_load_dwordx2 v[6:7], v8, s[26:27] offset:40
	global_load_dwordx2 v[10:11], v8, s[26:27] offset:24 sc0 sc1
	global_load_dwordx2 v[12:13], v8, s[26:27]
	s_mov_b64 s[0:1], 0
	s_waitcnt vmcnt(2)
	v_lshl_add_u64 v[0:1], v[6:7], 0, 1
	v_lshl_add_u64 v[14:15], v[0:1], 0, s[4:5]
	v_cmp_eq_u64_e32 vcc, 0, v[14:15]
	s_waitcnt vmcnt(1)
	v_mov_b32_e32 v2, v10
	v_cndmask_b32_e32 v1, v15, v1, vcc
	v_cndmask_b32_e32 v0, v14, v0, vcc
	v_and_b32_e32 v3, v1, v7
	v_and_b32_e32 v6, v0, v6
	v_mul_lo_u32 v3, v3, 24
	v_mul_hi_u32 v7, v6, 24
	v_mul_lo_u32 v6, v6, 24
	v_add_u32_e32 v7, v7, v3
	s_waitcnt vmcnt(0)
	v_lshl_add_u64 v[6:7], v[12:13], 0, v[6:7]
	global_store_dwordx2 v[6:7], v[10:11], off
	v_mov_b32_e32 v3, v11
	buffer_wbl2 sc0 sc1
	s_waitcnt vmcnt(0)
	global_atomic_cmpswap_x2 v[2:3], v8, v[0:3], s[26:27] offset:24 sc0 sc1
	s_waitcnt vmcnt(0)
	v_cmp_ne_u64_e32 vcc, v[2:3], v[10:11]
	s_and_b64 exec, exec, vcc
	s_cbranch_execz .LBB3_440
.LBB3_439:                              ; =>This Inner Loop Header: Depth=1
	s_sleep 1
	global_store_dwordx2 v[6:7], v[2:3], off
	buffer_wbl2 sc0 sc1
	s_waitcnt vmcnt(0)
	global_atomic_cmpswap_x2 v[10:11], v8, v[0:3], s[26:27] offset:24 sc0 sc1
	s_waitcnt vmcnt(0)
	v_cmp_eq_u64_e32 vcc, v[10:11], v[2:3]
	s_or_b64 s[0:1], vcc, s[0:1]
	v_mov_b64_e32 v[2:3], v[10:11]
	s_andn2_b64 exec, exec, s[0:1]
	s_cbranch_execnz .LBB3_439
.LBB3_440:
	s_or_b64 exec, exec, s[6:7]
	s_and_b64 vcc, exec, s[2:3]
	s_cbranch_vccz .LBB3_525
; %bb.441:
	s_waitcnt vmcnt(0)
	v_and_b32_e32 v26, 2, v4
	v_mov_b32_e32 v29, 0
	v_and_b32_e32 v0, -3, v4
	v_mov_b32_e32 v1, v5
	s_mov_b64 s[6:7], 3
	v_mov_b32_e32 v8, 2
	v_mov_b32_e32 v9, 1
	s_getpc_b64 s[4:5]
	s_add_u32 s4, s4, .str.5@rel32@lo+4
	s_addc_u32 s5, s5, .str.5@rel32@hi+12
	s_branch .LBB3_443
.LBB3_442:                              ;   in Loop: Header=BB3_443 Depth=1
	s_or_b64 exec, exec, s[20:21]
	s_sub_u32 s6, s6, s10
	s_subb_u32 s7, s7, s11
	s_add_u32 s4, s4, s10
	s_addc_u32 s5, s5, s11
	s_cmp_lg_u64 s[6:7], 0
	s_cbranch_scc0 .LBB3_524
.LBB3_443:                              ; =>This Loop Header: Depth=1
                                        ;     Child Loop BB3_446 Depth 2
                                        ;     Child Loop BB3_453 Depth 2
	;; [unrolled: 1-line block ×11, first 2 shown]
	v_cmp_lt_u64_e64 s[0:1], s[6:7], 56
	s_and_b64 s[0:1], s[0:1], exec
	v_cmp_gt_u64_e64 s[0:1], s[6:7], 7
	s_cselect_b32 s11, s7, 0
	s_cselect_b32 s10, s6, 56
	s_and_b64 vcc, exec, s[0:1]
	s_cbranch_vccnz .LBB3_448
; %bb.444:                              ;   in Loop: Header=BB3_443 Depth=1
	s_mov_b64 s[0:1], 0
	s_cmp_eq_u64 s[6:7], 0
	s_waitcnt vmcnt(0)
	v_mov_b64_e32 v[2:3], 0
	s_cbranch_scc1 .LBB3_447
; %bb.445:                              ;   in Loop: Header=BB3_443 Depth=1
	s_lshl_b64 s[16:17], s[10:11], 3
	s_mov_b64 s[20:21], 0
	v_mov_b64_e32 v[2:3], 0
	s_mov_b64 vcc, s[4:5]
.LBB3_446:                              ;   Parent Loop BB3_443 Depth=1
                                        ; =>  This Inner Loop Header: Depth=2
	global_load_ubyte v6, v29, vcc
	s_waitcnt vmcnt(0)
	v_and_b32_e32 v28, 0xffff, v6
	v_lshlrev_b64 v[6:7], s20, v[28:29]
	s_add_u32 s20, s20, 8
	s_addc_u32 s21, s21, 0
	s_add_u32 vcc_lo, vcc_lo, 1
	s_addc_u32 vcc_hi, vcc_hi, 0
	v_or_b32_e32 v2, v6, v2
	s_cmp_lg_u32 s16, s20
	v_or_b32_e32 v3, v7, v3
	s_cbranch_scc1 .LBB3_446
.LBB3_447:                              ;   in Loop: Header=BB3_443 Depth=1
	s_mov_b32 s15, 0
	s_andn2_b64 vcc, exec, s[0:1]
	s_mov_b64 s[0:1], s[4:5]
	s_cbranch_vccz .LBB3_449
	s_branch .LBB3_450
.LBB3_448:                              ;   in Loop: Header=BB3_443 Depth=1
                                        ; implicit-def: $vgpr2_vgpr3
                                        ; implicit-def: $sgpr15
	s_mov_b64 s[0:1], s[4:5]
.LBB3_449:                              ;   in Loop: Header=BB3_443 Depth=1
	global_load_dwordx2 v[2:3], v29, s[4:5]
	s_add_i32 s15, s10, -8
	s_add_u32 s0, s4, 8
	s_addc_u32 s1, s5, 0
.LBB3_450:                              ;   in Loop: Header=BB3_443 Depth=1
	s_cmp_gt_u32 s15, 7
	s_cbranch_scc1 .LBB3_454
; %bb.451:                              ;   in Loop: Header=BB3_443 Depth=1
	s_cmp_eq_u32 s15, 0
	s_cbranch_scc1 .LBB3_455
; %bb.452:                              ;   in Loop: Header=BB3_443 Depth=1
	s_mov_b64 s[16:17], 0
	v_mov_b64_e32 v[10:11], 0
	s_mov_b64 s[20:21], 0
.LBB3_453:                              ;   Parent Loop BB3_443 Depth=1
                                        ; =>  This Inner Loop Header: Depth=2
	s_add_u32 vcc_lo, s0, s20
	s_addc_u32 vcc_hi, s1, s21
	global_load_ubyte v6, v29, vcc
	s_add_u32 s20, s20, 1
	s_addc_u32 s21, s21, 0
	s_waitcnt vmcnt(0)
	v_and_b32_e32 v28, 0xffff, v6
	v_lshlrev_b64 v[6:7], s16, v[28:29]
	s_add_u32 s16, s16, 8
	s_addc_u32 s17, s17, 0
	v_or_b32_e32 v10, v6, v10
	s_cmp_lg_u32 s15, s20
	v_or_b32_e32 v11, v7, v11
	s_cbranch_scc1 .LBB3_453
	s_branch .LBB3_456
.LBB3_454:                              ;   in Loop: Header=BB3_443 Depth=1
                                        ; implicit-def: $vgpr10_vgpr11
                                        ; implicit-def: $sgpr30
	s_branch .LBB3_457
.LBB3_455:                              ;   in Loop: Header=BB3_443 Depth=1
	v_mov_b64_e32 v[10:11], 0
.LBB3_456:                              ;   in Loop: Header=BB3_443 Depth=1
	s_mov_b32 s30, 0
	s_cbranch_execnz .LBB3_458
.LBB3_457:                              ;   in Loop: Header=BB3_443 Depth=1
	global_load_dwordx2 v[10:11], v29, s[0:1]
	s_add_i32 s30, s15, -8
	s_add_u32 s0, s0, 8
	s_addc_u32 s1, s1, 0
.LBB3_458:                              ;   in Loop: Header=BB3_443 Depth=1
	s_cmp_gt_u32 s30, 7
	s_cbranch_scc1 .LBB3_462
; %bb.459:                              ;   in Loop: Header=BB3_443 Depth=1
	s_cmp_eq_u32 s30, 0
	s_cbranch_scc1 .LBB3_463
; %bb.460:                              ;   in Loop: Header=BB3_443 Depth=1
	s_mov_b64 s[16:17], 0
	v_mov_b64_e32 v[12:13], 0
	s_mov_b64 s[20:21], 0
.LBB3_461:                              ;   Parent Loop BB3_443 Depth=1
                                        ; =>  This Inner Loop Header: Depth=2
	s_add_u32 vcc_lo, s0, s20
	s_addc_u32 vcc_hi, s1, s21
	global_load_ubyte v6, v29, vcc
	s_add_u32 s20, s20, 1
	s_addc_u32 s21, s21, 0
	s_waitcnt vmcnt(0)
	v_and_b32_e32 v28, 0xffff, v6
	v_lshlrev_b64 v[6:7], s16, v[28:29]
	s_add_u32 s16, s16, 8
	s_addc_u32 s17, s17, 0
	v_or_b32_e32 v12, v6, v12
	s_cmp_lg_u32 s30, s20
	v_or_b32_e32 v13, v7, v13
	s_cbranch_scc1 .LBB3_461
	s_branch .LBB3_464
.LBB3_462:                              ;   in Loop: Header=BB3_443 Depth=1
                                        ; implicit-def: $sgpr15
	s_branch .LBB3_465
.LBB3_463:                              ;   in Loop: Header=BB3_443 Depth=1
	v_mov_b64_e32 v[12:13], 0
.LBB3_464:                              ;   in Loop: Header=BB3_443 Depth=1
	s_mov_b32 s15, 0
	s_cbranch_execnz .LBB3_466
.LBB3_465:                              ;   in Loop: Header=BB3_443 Depth=1
	global_load_dwordx2 v[12:13], v29, s[0:1]
	s_add_i32 s15, s30, -8
	s_add_u32 s0, s0, 8
	s_addc_u32 s1, s1, 0
.LBB3_466:                              ;   in Loop: Header=BB3_443 Depth=1
	s_cmp_gt_u32 s15, 7
	s_cbranch_scc1 .LBB3_470
; %bb.467:                              ;   in Loop: Header=BB3_443 Depth=1
	s_cmp_eq_u32 s15, 0
	s_cbranch_scc1 .LBB3_471
; %bb.468:                              ;   in Loop: Header=BB3_443 Depth=1
	s_mov_b64 s[16:17], 0
	v_mov_b64_e32 v[14:15], 0
	s_mov_b64 s[20:21], 0
.LBB3_469:                              ;   Parent Loop BB3_443 Depth=1
                                        ; =>  This Inner Loop Header: Depth=2
	s_add_u32 vcc_lo, s0, s20
	s_addc_u32 vcc_hi, s1, s21
	global_load_ubyte v6, v29, vcc
	s_add_u32 s20, s20, 1
	s_addc_u32 s21, s21, 0
	s_waitcnt vmcnt(0)
	v_and_b32_e32 v28, 0xffff, v6
	v_lshlrev_b64 v[6:7], s16, v[28:29]
	s_add_u32 s16, s16, 8
	s_addc_u32 s17, s17, 0
	v_or_b32_e32 v14, v6, v14
	s_cmp_lg_u32 s15, s20
	v_or_b32_e32 v15, v7, v15
	s_cbranch_scc1 .LBB3_469
	s_branch .LBB3_472
.LBB3_470:                              ;   in Loop: Header=BB3_443 Depth=1
                                        ; implicit-def: $vgpr14_vgpr15
                                        ; implicit-def: $sgpr30
	s_branch .LBB3_473
.LBB3_471:                              ;   in Loop: Header=BB3_443 Depth=1
	v_mov_b64_e32 v[14:15], 0
.LBB3_472:                              ;   in Loop: Header=BB3_443 Depth=1
	s_mov_b32 s30, 0
	s_cbranch_execnz .LBB3_474
.LBB3_473:                              ;   in Loop: Header=BB3_443 Depth=1
	global_load_dwordx2 v[14:15], v29, s[0:1]
	s_add_i32 s30, s15, -8
	s_add_u32 s0, s0, 8
	s_addc_u32 s1, s1, 0
.LBB3_474:                              ;   in Loop: Header=BB3_443 Depth=1
	s_cmp_gt_u32 s30, 7
	s_cbranch_scc1 .LBB3_478
; %bb.475:                              ;   in Loop: Header=BB3_443 Depth=1
	s_cmp_eq_u32 s30, 0
	s_cbranch_scc1 .LBB3_479
; %bb.476:                              ;   in Loop: Header=BB3_443 Depth=1
	s_mov_b64 s[16:17], 0
	v_mov_b64_e32 v[16:17], 0
	s_mov_b64 s[20:21], 0
.LBB3_477:                              ;   Parent Loop BB3_443 Depth=1
                                        ; =>  This Inner Loop Header: Depth=2
	s_add_u32 vcc_lo, s0, s20
	s_addc_u32 vcc_hi, s1, s21
	global_load_ubyte v6, v29, vcc
	s_add_u32 s20, s20, 1
	s_addc_u32 s21, s21, 0
	s_waitcnt vmcnt(0)
	v_and_b32_e32 v28, 0xffff, v6
	v_lshlrev_b64 v[6:7], s16, v[28:29]
	s_add_u32 s16, s16, 8
	s_addc_u32 s17, s17, 0
	v_or_b32_e32 v16, v6, v16
	s_cmp_lg_u32 s30, s20
	v_or_b32_e32 v17, v7, v17
	s_cbranch_scc1 .LBB3_477
	s_branch .LBB3_480
.LBB3_478:                              ;   in Loop: Header=BB3_443 Depth=1
                                        ; implicit-def: $sgpr15
	s_branch .LBB3_481
.LBB3_479:                              ;   in Loop: Header=BB3_443 Depth=1
	v_mov_b64_e32 v[16:17], 0
.LBB3_480:                              ;   in Loop: Header=BB3_443 Depth=1
	s_mov_b32 s15, 0
	s_cbranch_execnz .LBB3_482
.LBB3_481:                              ;   in Loop: Header=BB3_443 Depth=1
	global_load_dwordx2 v[16:17], v29, s[0:1]
	s_add_i32 s15, s30, -8
	s_add_u32 s0, s0, 8
	s_addc_u32 s1, s1, 0
.LBB3_482:                              ;   in Loop: Header=BB3_443 Depth=1
	s_cmp_gt_u32 s15, 7
	s_cbranch_scc1 .LBB3_486
; %bb.483:                              ;   in Loop: Header=BB3_443 Depth=1
	s_cmp_eq_u32 s15, 0
	s_cbranch_scc1 .LBB3_487
; %bb.484:                              ;   in Loop: Header=BB3_443 Depth=1
	s_mov_b64 s[16:17], 0
	v_mov_b64_e32 v[18:19], 0
	s_mov_b64 s[20:21], 0
.LBB3_485:                              ;   Parent Loop BB3_443 Depth=1
                                        ; =>  This Inner Loop Header: Depth=2
	s_add_u32 vcc_lo, s0, s20
	s_addc_u32 vcc_hi, s1, s21
	global_load_ubyte v6, v29, vcc
	s_add_u32 s20, s20, 1
	s_addc_u32 s21, s21, 0
	s_waitcnt vmcnt(0)
	v_and_b32_e32 v28, 0xffff, v6
	v_lshlrev_b64 v[6:7], s16, v[28:29]
	s_add_u32 s16, s16, 8
	s_addc_u32 s17, s17, 0
	v_or_b32_e32 v18, v6, v18
	s_cmp_lg_u32 s15, s20
	v_or_b32_e32 v19, v7, v19
	s_cbranch_scc1 .LBB3_485
	s_branch .LBB3_488
.LBB3_486:                              ;   in Loop: Header=BB3_443 Depth=1
                                        ; implicit-def: $vgpr18_vgpr19
                                        ; implicit-def: $sgpr30
	s_branch .LBB3_489
.LBB3_487:                              ;   in Loop: Header=BB3_443 Depth=1
	v_mov_b64_e32 v[18:19], 0
.LBB3_488:                              ;   in Loop: Header=BB3_443 Depth=1
	s_mov_b32 s30, 0
	s_cbranch_execnz .LBB3_490
.LBB3_489:                              ;   in Loop: Header=BB3_443 Depth=1
	global_load_dwordx2 v[18:19], v29, s[0:1]
	s_add_i32 s30, s15, -8
	s_add_u32 s0, s0, 8
	s_addc_u32 s1, s1, 0
.LBB3_490:                              ;   in Loop: Header=BB3_443 Depth=1
	s_cmp_gt_u32 s30, 7
	s_cbranch_scc1 .LBB3_494
; %bb.491:                              ;   in Loop: Header=BB3_443 Depth=1
	s_cmp_eq_u32 s30, 0
	s_cbranch_scc1 .LBB3_495
; %bb.492:                              ;   in Loop: Header=BB3_443 Depth=1
	s_mov_b64 s[16:17], 0
	v_mov_b64_e32 v[20:21], 0
	s_mov_b64 s[20:21], s[0:1]
.LBB3_493:                              ;   Parent Loop BB3_443 Depth=1
                                        ; =>  This Inner Loop Header: Depth=2
	global_load_ubyte v6, v29, s[20:21]
	s_add_i32 s30, s30, -1
	s_waitcnt vmcnt(0)
	v_and_b32_e32 v28, 0xffff, v6
	v_lshlrev_b64 v[6:7], s16, v[28:29]
	s_add_u32 s16, s16, 8
	s_addc_u32 s17, s17, 0
	s_add_u32 s20, s20, 1
	s_addc_u32 s21, s21, 0
	v_or_b32_e32 v20, v6, v20
	s_cmp_lg_u32 s30, 0
	v_or_b32_e32 v21, v7, v21
	s_cbranch_scc1 .LBB3_493
	s_branch .LBB3_496
.LBB3_494:                              ;   in Loop: Header=BB3_443 Depth=1
	s_branch .LBB3_497
.LBB3_495:                              ;   in Loop: Header=BB3_443 Depth=1
	v_mov_b64_e32 v[20:21], 0
.LBB3_496:                              ;   in Loop: Header=BB3_443 Depth=1
	s_cbranch_execnz .LBB3_498
.LBB3_497:                              ;   in Loop: Header=BB3_443 Depth=1
	global_load_dwordx2 v[20:21], v29, s[0:1]
.LBB3_498:                              ;   in Loop: Header=BB3_443 Depth=1
	v_readfirstlane_b32 s0, v37
	v_mov_b64_e32 v[6:7], 0
	s_nop 0
	v_cmp_eq_u32_e64 s[0:1], s0, v37
	s_and_saveexec_b64 s[16:17], s[0:1]
	s_cbranch_execz .LBB3_504
; %bb.499:                              ;   in Loop: Header=BB3_443 Depth=1
	global_load_dwordx2 v[24:25], v29, s[26:27] offset:24 sc0 sc1
	s_waitcnt vmcnt(0)
	buffer_inv sc0 sc1
	global_load_dwordx2 v[6:7], v29, s[26:27] offset:40
	global_load_dwordx2 v[22:23], v29, s[26:27]
	s_waitcnt vmcnt(1)
	v_and_b32_e32 v6, v6, v24
	v_and_b32_e32 v7, v7, v25
	v_mul_lo_u32 v7, v7, 24
	v_mul_hi_u32 v27, v6, 24
	v_add_u32_e32 v7, v27, v7
	v_mul_lo_u32 v6, v6, 24
	s_waitcnt vmcnt(0)
	v_lshl_add_u64 v[6:7], v[22:23], 0, v[6:7]
	global_load_dwordx2 v[22:23], v[6:7], off sc0 sc1
	s_waitcnt vmcnt(0)
	global_atomic_cmpswap_x2 v[6:7], v29, v[22:25], s[26:27] offset:24 sc0 sc1
	s_waitcnt vmcnt(0)
	buffer_inv sc0 sc1
	v_cmp_ne_u64_e32 vcc, v[6:7], v[24:25]
	s_and_saveexec_b64 s[20:21], vcc
	s_cbranch_execz .LBB3_503
; %bb.500:                              ;   in Loop: Header=BB3_443 Depth=1
	s_mov_b64 s[30:31], 0
.LBB3_501:                              ;   Parent Loop BB3_443 Depth=1
                                        ; =>  This Inner Loop Header: Depth=2
	s_sleep 1
	global_load_dwordx2 v[22:23], v29, s[26:27] offset:40
	global_load_dwordx2 v[30:31], v29, s[26:27]
	v_mov_b64_e32 v[24:25], v[6:7]
	s_waitcnt vmcnt(1)
	v_and_b32_e32 v6, v22, v24
	s_waitcnt vmcnt(0)
	v_mad_u64_u32 v[6:7], vcc, v6, 24, v[30:31]
	v_and_b32_e32 v23, v23, v25
	v_mov_b32_e32 v22, v7
	v_mad_u64_u32 v[22:23], vcc, v23, 24, v[22:23]
	v_mov_b32_e32 v7, v22
	global_load_dwordx2 v[22:23], v[6:7], off sc0 sc1
	s_waitcnt vmcnt(0)
	global_atomic_cmpswap_x2 v[6:7], v29, v[22:25], s[26:27] offset:24 sc0 sc1
	s_waitcnt vmcnt(0)
	buffer_inv sc0 sc1
	v_cmp_eq_u64_e32 vcc, v[6:7], v[24:25]
	s_or_b64 s[30:31], vcc, s[30:31]
	s_andn2_b64 exec, exec, s[30:31]
	s_cbranch_execnz .LBB3_501
; %bb.502:                              ;   in Loop: Header=BB3_443 Depth=1
	s_or_b64 exec, exec, s[30:31]
.LBB3_503:                              ;   in Loop: Header=BB3_443 Depth=1
	s_or_b64 exec, exec, s[20:21]
.LBB3_504:                              ;   in Loop: Header=BB3_443 Depth=1
	s_or_b64 exec, exec, s[16:17]
	global_load_dwordx2 v[30:31], v29, s[26:27] offset:40
	global_load_dwordx4 v[22:25], v29, s[26:27]
	v_readfirstlane_b32 s16, v6
	v_readfirstlane_b32 s17, v7
	s_mov_b64 s[20:21], exec
	s_waitcnt vmcnt(1)
	v_readfirstlane_b32 vcc_lo, v30
	v_readfirstlane_b32 vcc_hi, v31
	s_and_b64 vcc, s[16:17], vcc
	s_mul_i32 s15, vcc_hi, 24
	s_mul_hi_u32 s30, vcc_lo, 24
	s_add_i32 s31, s30, s15
	s_mul_i32 s30, vcc_lo, 24
	s_waitcnt vmcnt(0)
	v_lshl_add_u64 v[30:31], v[22:23], 0, s[30:31]
	s_and_saveexec_b64 s[30:31], s[0:1]
	s_cbranch_execz .LBB3_506
; %bb.505:                              ;   in Loop: Header=BB3_443 Depth=1
	v_mov_b64_e32 v[6:7], s[20:21]
	global_store_dwordx4 v[30:31], v[6:9], off offset:8
.LBB3_506:                              ;   in Loop: Header=BB3_443 Depth=1
	s_or_b64 exec, exec, s[30:31]
	s_lshl_b64 s[20:21], vcc, 12
	v_lshl_add_u64 v[6:7], v[24:25], 0, s[20:21]
	v_or_b32_e32 v25, v0, v26
	v_cmp_gt_u64_e64 vcc, s[6:7], 56
	s_lshl_b32 s15, s10, 2
	s_add_i32 s15, s15, 28
	v_cndmask_b32_e32 v0, v25, v0, vcc
	v_or_b32_e32 v24, 0, v1
	s_and_b32 s15, s15, 0x1e0
	v_and_b32_e32 v0, 0xffffff1f, v0
	v_cndmask_b32_e32 v1, v24, v1, vcc
	v_or_b32_e32 v0, s15, v0
	v_readfirstlane_b32 s20, v6
	v_readfirstlane_b32 s21, v7
	s_nop 4
	global_store_dwordx4 v48, v[0:3], s[20:21]
	global_store_dwordx4 v48, v[10:13], s[20:21] offset:16
	global_store_dwordx4 v48, v[14:17], s[20:21] offset:32
	;; [unrolled: 1-line block ×3, first 2 shown]
	s_and_saveexec_b64 s[20:21], s[0:1]
	s_cbranch_execz .LBB3_514
; %bb.507:                              ;   in Loop: Header=BB3_443 Depth=1
	global_load_dwordx2 v[14:15], v29, s[26:27] offset:32 sc0 sc1
	global_load_dwordx2 v[0:1], v29, s[26:27] offset:40
	v_mov_b32_e32 v12, s16
	v_mov_b32_e32 v13, s17
	s_waitcnt vmcnt(0)
	v_readfirstlane_b32 vcc_lo, v0
	v_readfirstlane_b32 vcc_hi, v1
	s_and_b64 vcc, vcc, s[16:17]
	s_mul_i32 s15, vcc_hi, 24
	s_mul_hi_u32 vcc_hi, vcc_lo, 24
	s_mul_i32 vcc_lo, vcc_lo, 24
	s_add_i32 vcc_hi, vcc_hi, s15
	v_lshl_add_u64 v[10:11], v[22:23], 0, vcc
	global_store_dwordx2 v[10:11], v[14:15], off
	buffer_wbl2 sc0 sc1
	s_waitcnt vmcnt(0)
	global_atomic_cmpswap_x2 v[2:3], v29, v[12:15], s[26:27] offset:32 sc0 sc1
	s_waitcnt vmcnt(0)
	v_cmp_ne_u64_e32 vcc, v[2:3], v[14:15]
	s_and_saveexec_b64 s[30:31], vcc
	s_cbranch_execz .LBB3_510
; %bb.508:                              ;   in Loop: Header=BB3_443 Depth=1
	s_mov_b64 s[34:35], 0
.LBB3_509:                              ;   Parent Loop BB3_443 Depth=1
                                        ; =>  This Inner Loop Header: Depth=2
	s_sleep 1
	global_store_dwordx2 v[10:11], v[2:3], off
	v_mov_b32_e32 v0, s16
	v_mov_b32_e32 v1, s17
	buffer_wbl2 sc0 sc1
	s_waitcnt vmcnt(0)
	global_atomic_cmpswap_x2 v[0:1], v29, v[0:3], s[26:27] offset:32 sc0 sc1
	s_waitcnt vmcnt(0)
	v_cmp_eq_u64_e32 vcc, v[0:1], v[2:3]
	s_or_b64 s[34:35], vcc, s[34:35]
	v_mov_b64_e32 v[2:3], v[0:1]
	s_andn2_b64 exec, exec, s[34:35]
	s_cbranch_execnz .LBB3_509
.LBB3_510:                              ;   in Loop: Header=BB3_443 Depth=1
	s_or_b64 exec, exec, s[30:31]
	global_load_dwordx2 v[0:1], v29, s[26:27] offset:16
	s_mov_b64 s[34:35], exec
	v_mbcnt_lo_u32_b32 v2, s34, 0
	v_mbcnt_hi_u32_b32 v2, s35, v2
	v_cmp_eq_u32_e32 vcc, 0, v2
	s_and_saveexec_b64 s[30:31], vcc
	s_cbranch_execz .LBB3_512
; %bb.511:                              ;   in Loop: Header=BB3_443 Depth=1
	s_bcnt1_i32_b64 s15, s[34:35]
	v_mov_b32_e32 v28, s15
	buffer_wbl2 sc0 sc1
	s_waitcnt vmcnt(0)
	global_atomic_add_x2 v[0:1], v[28:29], off offset:8 sc1
.LBB3_512:                              ;   in Loop: Header=BB3_443 Depth=1
	s_or_b64 exec, exec, s[30:31]
	s_waitcnt vmcnt(0)
	global_load_dwordx2 v[2:3], v[0:1], off offset:16
	s_waitcnt vmcnt(0)
	v_cmp_eq_u64_e32 vcc, 0, v[2:3]
	s_cbranch_vccnz .LBB3_514
; %bb.513:                              ;   in Loop: Header=BB3_443 Depth=1
	global_load_dword v28, v[0:1], off offset:24
	s_waitcnt vmcnt(0)
	v_and_b32_e32 v0, 0xffffff, v28
	s_nop 0
	v_readfirstlane_b32 m0, v0
	buffer_wbl2 sc0 sc1
	global_store_dwordx2 v[2:3], v[28:29], off sc0 sc1
	s_sendmsg sendmsg(MSG_INTERRUPT)
.LBB3_514:                              ;   in Loop: Header=BB3_443 Depth=1
	s_or_b64 exec, exec, s[20:21]
	v_mov_b32_e32 v49, v29
	v_lshl_add_u64 v[0:1], v[6:7], 0, v[48:49]
	s_branch .LBB3_518
.LBB3_515:                              ;   in Loop: Header=BB3_518 Depth=2
	s_or_b64 exec, exec, s[20:21]
	v_readfirstlane_b32 s15, v2
	s_cmp_eq_u32 s15, 0
	s_cbranch_scc1 .LBB3_517
; %bb.516:                              ;   in Loop: Header=BB3_518 Depth=2
	s_sleep 1
	s_cbranch_execnz .LBB3_518
	s_branch .LBB3_520
.LBB3_517:                              ;   in Loop: Header=BB3_443 Depth=1
	s_branch .LBB3_520
.LBB3_518:                              ;   Parent Loop BB3_443 Depth=1
                                        ; =>  This Inner Loop Header: Depth=2
	v_mov_b32_e32 v2, 1
	s_and_saveexec_b64 s[20:21], s[0:1]
	s_cbranch_execz .LBB3_515
; %bb.519:                              ;   in Loop: Header=BB3_518 Depth=2
	global_load_dword v2, v[30:31], off offset:20 sc0 sc1
	s_waitcnt vmcnt(0)
	buffer_inv sc0 sc1
	v_and_b32_e32 v2, 1, v2
	s_branch .LBB3_515
.LBB3_520:                              ;   in Loop: Header=BB3_443 Depth=1
	global_load_dwordx4 v[0:3], v[0:1], off
	s_and_saveexec_b64 s[20:21], s[0:1]
	s_cbranch_execz .LBB3_442
; %bb.521:                              ;   in Loop: Header=BB3_443 Depth=1
	global_load_dwordx2 v[2:3], v29, s[26:27] offset:40
	global_load_dwordx2 v[6:7], v29, s[26:27] offset:24 sc0 sc1
	global_load_dwordx2 v[14:15], v29, s[26:27]
	s_waitcnt vmcnt(2)
	v_lshl_add_u64 v[10:11], v[2:3], 0, 1
	v_lshl_add_u64 v[16:17], v[10:11], 0, s[16:17]
	v_cmp_eq_u64_e32 vcc, 0, v[16:17]
	s_waitcnt vmcnt(1)
	v_mov_b32_e32 v12, v6
	v_cndmask_b32_e32 v11, v17, v11, vcc
	v_cndmask_b32_e32 v10, v16, v10, vcc
	v_and_b32_e32 v3, v11, v3
	v_and_b32_e32 v2, v10, v2
	v_mul_lo_u32 v3, v3, 24
	v_mul_hi_u32 v13, v2, 24
	v_mul_lo_u32 v2, v2, 24
	v_add_u32_e32 v3, v13, v3
	s_waitcnt vmcnt(0)
	v_lshl_add_u64 v[2:3], v[14:15], 0, v[2:3]
	global_store_dwordx2 v[2:3], v[6:7], off
	v_mov_b32_e32 v13, v7
	buffer_wbl2 sc0 sc1
	s_waitcnt vmcnt(0)
	global_atomic_cmpswap_x2 v[12:13], v29, v[10:13], s[26:27] offset:24 sc0 sc1
	s_waitcnt vmcnt(0)
	v_cmp_ne_u64_e32 vcc, v[12:13], v[6:7]
	s_and_b64 exec, exec, vcc
	s_cbranch_execz .LBB3_442
; %bb.522:                              ;   in Loop: Header=BB3_443 Depth=1
	s_mov_b64 s[0:1], 0
.LBB3_523:                              ;   Parent Loop BB3_443 Depth=1
                                        ; =>  This Inner Loop Header: Depth=2
	s_sleep 1
	global_store_dwordx2 v[2:3], v[12:13], off
	buffer_wbl2 sc0 sc1
	s_waitcnt vmcnt(0)
	global_atomic_cmpswap_x2 v[6:7], v29, v[10:13], s[26:27] offset:24 sc0 sc1
	s_waitcnt vmcnt(0)
	v_cmp_eq_u64_e32 vcc, v[6:7], v[12:13]
	s_or_b64 s[0:1], vcc, s[0:1]
	v_mov_b64_e32 v[12:13], v[6:7]
	s_andn2_b64 exec, exec, s[0:1]
	s_cbranch_execnz .LBB3_523
	s_branch .LBB3_442
.LBB3_524:
	s_branch .LBB3_552
.LBB3_525:
                                        ; implicit-def: $vgpr0_vgpr1
	s_cbranch_execz .LBB3_552
; %bb.526:
	v_readfirstlane_b32 s0, v37
	v_mov_b64_e32 v[6:7], 0
	s_nop 0
	v_cmp_eq_u32_e64 s[0:1], s0, v37
	s_and_saveexec_b64 s[4:5], s[0:1]
	s_cbranch_execz .LBB3_532
; %bb.527:
	s_waitcnt vmcnt(0)
	v_mov_b32_e32 v0, 0
	global_load_dwordx2 v[8:9], v0, s[26:27] offset:24 sc0 sc1
	s_waitcnt vmcnt(0)
	buffer_inv sc0 sc1
	global_load_dwordx2 v[2:3], v0, s[26:27] offset:40
	global_load_dwordx2 v[6:7], v0, s[26:27]
	s_waitcnt vmcnt(1)
	v_and_b32_e32 v1, v2, v8
	v_and_b32_e32 v2, v3, v9
	v_mul_lo_u32 v2, v2, 24
	v_mul_hi_u32 v3, v1, 24
	v_add_u32_e32 v3, v3, v2
	v_mul_lo_u32 v2, v1, 24
	s_waitcnt vmcnt(0)
	v_lshl_add_u64 v[2:3], v[6:7], 0, v[2:3]
	global_load_dwordx2 v[6:7], v[2:3], off sc0 sc1
	s_waitcnt vmcnt(0)
	global_atomic_cmpswap_x2 v[6:7], v0, v[6:9], s[26:27] offset:24 sc0 sc1
	s_waitcnt vmcnt(0)
	buffer_inv sc0 sc1
	v_cmp_ne_u64_e32 vcc, v[6:7], v[8:9]
	s_and_saveexec_b64 s[6:7], vcc
	s_cbranch_execz .LBB3_531
; %bb.528:
	s_mov_b64 s[10:11], 0
.LBB3_529:                              ; =>This Inner Loop Header: Depth=1
	s_sleep 1
	global_load_dwordx2 v[2:3], v0, s[26:27] offset:40
	global_load_dwordx2 v[10:11], v0, s[26:27]
	v_mov_b64_e32 v[8:9], v[6:7]
	s_waitcnt vmcnt(1)
	v_and_b32_e32 v2, v2, v8
	v_and_b32_e32 v1, v3, v9
	s_waitcnt vmcnt(0)
	v_mad_u64_u32 v[2:3], s[16:17], v2, 24, v[10:11]
	v_mov_b32_e32 v6, v3
	v_mad_u64_u32 v[6:7], s[16:17], v1, 24, v[6:7]
	v_mov_b32_e32 v3, v6
	global_load_dwordx2 v[6:7], v[2:3], off sc0 sc1
	s_waitcnt vmcnt(0)
	global_atomic_cmpswap_x2 v[6:7], v0, v[6:9], s[26:27] offset:24 sc0 sc1
	s_waitcnt vmcnt(0)
	buffer_inv sc0 sc1
	v_cmp_eq_u64_e32 vcc, v[6:7], v[8:9]
	s_or_b64 s[10:11], vcc, s[10:11]
	s_andn2_b64 exec, exec, s[10:11]
	s_cbranch_execnz .LBB3_529
; %bb.530:
	s_or_b64 exec, exec, s[10:11]
.LBB3_531:
	s_or_b64 exec, exec, s[6:7]
.LBB3_532:
	s_or_b64 exec, exec, s[4:5]
	v_mov_b32_e32 v49, 0
	global_load_dwordx2 v[8:9], v49, s[26:27] offset:40
	global_load_dwordx4 v[0:3], v49, s[26:27]
	v_readfirstlane_b32 s4, v6
	v_readfirstlane_b32 s5, v7
	s_mov_b64 s[6:7], exec
	s_waitcnt vmcnt(1)
	v_readfirstlane_b32 s10, v8
	v_readfirstlane_b32 s11, v9
	s_and_b64 s[10:11], s[4:5], s[10:11]
	s_mul_i32 s15, s11, 24
	s_mul_hi_u32 s16, s10, 24
	s_add_i32 s17, s16, s15
	s_mul_i32 s16, s10, 24
	s_waitcnt vmcnt(0)
	v_lshl_add_u64 v[8:9], v[0:1], 0, s[16:17]
	s_and_saveexec_b64 s[16:17], s[0:1]
	s_cbranch_execz .LBB3_534
; %bb.533:
	v_mov_b64_e32 v[10:11], s[6:7]
	v_mov_b32_e32 v12, 2
	v_mov_b32_e32 v13, 1
	global_store_dwordx4 v[8:9], v[10:13], off offset:8
.LBB3_534:
	s_or_b64 exec, exec, s[16:17]
	s_lshl_b64 s[6:7], s[10:11], 12
	v_lshl_add_u64 v[10:11], v[2:3], 0, s[6:7]
	s_movk_i32 s6, 0xff1f
	s_mov_b32 s36, 0
	v_and_or_b32 v4, v4, s6, 32
	v_mov_b32_e32 v6, v49
	v_mov_b32_e32 v7, v49
	v_readfirstlane_b32 s6, v10
	v_readfirstlane_b32 s7, v11
	s_mov_b32 s37, s36
	s_mov_b32 s38, s36
	;; [unrolled: 1-line block ×3, first 2 shown]
	s_nop 1
	global_store_dwordx4 v48, v[4:7], s[6:7]
	v_mov_b64_e32 v[2:3], s[36:37]
	s_nop 0
	v_mov_b64_e32 v[4:5], s[38:39]
	global_store_dwordx4 v48, v[2:5], s[6:7] offset:16
	global_store_dwordx4 v48, v[2:5], s[6:7] offset:32
	;; [unrolled: 1-line block ×3, first 2 shown]
	s_and_saveexec_b64 s[6:7], s[0:1]
	s_cbranch_execz .LBB3_542
; %bb.535:
	v_mov_b32_e32 v6, 0
	global_load_dwordx2 v[14:15], v6, s[26:27] offset:32 sc0 sc1
	global_load_dwordx2 v[2:3], v6, s[26:27] offset:40
	v_mov_b32_e32 v12, s4
	v_mov_b32_e32 v13, s5
	s_waitcnt vmcnt(0)
	v_readfirstlane_b32 s10, v2
	v_readfirstlane_b32 s11, v3
	s_and_b64 s[10:11], s[10:11], s[4:5]
	s_mul_i32 s11, s11, 24
	s_mul_hi_u32 s15, s10, 24
	s_mul_i32 s10, s10, 24
	s_add_i32 s11, s15, s11
	v_lshl_add_u64 v[4:5], v[0:1], 0, s[10:11]
	global_store_dwordx2 v[4:5], v[14:15], off
	buffer_wbl2 sc0 sc1
	s_waitcnt vmcnt(0)
	global_atomic_cmpswap_x2 v[2:3], v6, v[12:15], s[26:27] offset:32 sc0 sc1
	s_waitcnt vmcnt(0)
	v_cmp_ne_u64_e32 vcc, v[2:3], v[14:15]
	s_and_saveexec_b64 s[10:11], vcc
	s_cbranch_execz .LBB3_538
; %bb.536:
	s_mov_b64 s[16:17], 0
.LBB3_537:                              ; =>This Inner Loop Header: Depth=1
	s_sleep 1
	global_store_dwordx2 v[4:5], v[2:3], off
	v_mov_b32_e32 v0, s4
	v_mov_b32_e32 v1, s5
	buffer_wbl2 sc0 sc1
	s_waitcnt vmcnt(0)
	global_atomic_cmpswap_x2 v[0:1], v6, v[0:3], s[26:27] offset:32 sc0 sc1
	s_waitcnt vmcnt(0)
	v_cmp_eq_u64_e32 vcc, v[0:1], v[2:3]
	s_or_b64 s[16:17], vcc, s[16:17]
	v_mov_b64_e32 v[2:3], v[0:1]
	s_andn2_b64 exec, exec, s[16:17]
	s_cbranch_execnz .LBB3_537
.LBB3_538:
	s_or_b64 exec, exec, s[10:11]
	v_mov_b32_e32 v3, 0
	global_load_dwordx2 v[0:1], v3, s[26:27] offset:16
	s_mov_b64 s[10:11], exec
	v_mbcnt_lo_u32_b32 v2, s10, 0
	v_mbcnt_hi_u32_b32 v2, s11, v2
	v_cmp_eq_u32_e32 vcc, 0, v2
	s_and_saveexec_b64 s[16:17], vcc
	s_cbranch_execz .LBB3_540
; %bb.539:
	s_bcnt1_i32_b64 s10, s[10:11]
	v_mov_b32_e32 v2, s10
	buffer_wbl2 sc0 sc1
	s_waitcnt vmcnt(0)
	global_atomic_add_x2 v[0:1], v[2:3], off offset:8 sc1
.LBB3_540:
	s_or_b64 exec, exec, s[16:17]
	s_waitcnt vmcnt(0)
	global_load_dwordx2 v[2:3], v[0:1], off offset:16
	s_waitcnt vmcnt(0)
	v_cmp_eq_u64_e32 vcc, 0, v[2:3]
	s_cbranch_vccnz .LBB3_542
; %bb.541:
	global_load_dword v0, v[0:1], off offset:24
	v_mov_b32_e32 v1, 0
	buffer_wbl2 sc0 sc1
	s_waitcnt vmcnt(0)
	global_store_dwordx2 v[2:3], v[0:1], off sc0 sc1
	v_and_b32_e32 v0, 0xffffff, v0
	s_nop 0
	v_readfirstlane_b32 m0, v0
	s_sendmsg sendmsg(MSG_INTERRUPT)
.LBB3_542:
	s_or_b64 exec, exec, s[6:7]
	v_lshl_add_u64 v[0:1], v[10:11], 0, v[48:49]
	s_branch .LBB3_546
.LBB3_543:                              ;   in Loop: Header=BB3_546 Depth=1
	s_or_b64 exec, exec, s[6:7]
	v_readfirstlane_b32 s6, v2
	s_cmp_eq_u32 s6, 0
	s_cbranch_scc1 .LBB3_545
; %bb.544:                              ;   in Loop: Header=BB3_546 Depth=1
	s_sleep 1
	s_cbranch_execnz .LBB3_546
	s_branch .LBB3_548
.LBB3_545:
	s_branch .LBB3_548
.LBB3_546:                              ; =>This Inner Loop Header: Depth=1
	v_mov_b32_e32 v2, 1
	s_and_saveexec_b64 s[6:7], s[0:1]
	s_cbranch_execz .LBB3_543
; %bb.547:                              ;   in Loop: Header=BB3_546 Depth=1
	global_load_dword v2, v[8:9], off offset:20 sc0 sc1
	s_waitcnt vmcnt(0)
	buffer_inv sc0 sc1
	v_and_b32_e32 v2, 1, v2
	s_branch .LBB3_543
.LBB3_548:
	global_load_dwordx2 v[0:1], v[0:1], off
	s_and_saveexec_b64 s[6:7], s[0:1]
	s_cbranch_execz .LBB3_551
; %bb.549:
	v_mov_b32_e32 v8, 0
	global_load_dwordx2 v[6:7], v8, s[26:27] offset:40
	global_load_dwordx2 v[10:11], v8, s[26:27] offset:24 sc0 sc1
	global_load_dwordx2 v[12:13], v8, s[26:27]
	s_mov_b64 s[0:1], 0
	s_waitcnt vmcnt(2)
	v_lshl_add_u64 v[2:3], v[6:7], 0, 1
	v_lshl_add_u64 v[14:15], v[2:3], 0, s[4:5]
	v_cmp_eq_u64_e32 vcc, 0, v[14:15]
	s_waitcnt vmcnt(1)
	v_mov_b32_e32 v4, v10
	v_cndmask_b32_e32 v3, v15, v3, vcc
	v_cndmask_b32_e32 v2, v14, v2, vcc
	v_and_b32_e32 v5, v3, v7
	v_and_b32_e32 v6, v2, v6
	v_mul_lo_u32 v5, v5, 24
	v_mul_hi_u32 v7, v6, 24
	v_mul_lo_u32 v6, v6, 24
	v_add_u32_e32 v7, v7, v5
	s_waitcnt vmcnt(0)
	v_lshl_add_u64 v[6:7], v[12:13], 0, v[6:7]
	global_store_dwordx2 v[6:7], v[10:11], off
	v_mov_b32_e32 v5, v11
	buffer_wbl2 sc0 sc1
	s_waitcnt vmcnt(0)
	global_atomic_cmpswap_x2 v[4:5], v8, v[2:5], s[26:27] offset:24 sc0 sc1
	s_waitcnt vmcnt(0)
	v_cmp_ne_u64_e32 vcc, v[4:5], v[10:11]
	s_and_b64 exec, exec, vcc
	s_cbranch_execz .LBB3_551
.LBB3_550:                              ; =>This Inner Loop Header: Depth=1
	s_sleep 1
	global_store_dwordx2 v[6:7], v[4:5], off
	buffer_wbl2 sc0 sc1
	s_waitcnt vmcnt(0)
	global_atomic_cmpswap_x2 v[10:11], v8, v[2:5], s[26:27] offset:24 sc0 sc1
	s_waitcnt vmcnt(0)
	v_cmp_eq_u64_e32 vcc, v[10:11], v[4:5]
	s_or_b64 s[0:1], vcc, s[0:1]
	v_mov_b64_e32 v[4:5], v[10:11]
	s_andn2_b64 exec, exec, s[0:1]
	s_cbranch_execnz .LBB3_550
.LBB3_551:
	s_or_b64 exec, exec, s[6:7]
.LBB3_552:
	s_getpc_b64 s[4:5]
	s_add_u32 s4, s4, .str.1@rel32@lo+4
	s_addc_u32 s5, s5, .str.1@rel32@hi+12
	s_cmp_lg_u64 s[4:5], 0
	s_cbranch_scc0 .LBB3_637
; %bb.553:
	s_waitcnt vmcnt(0)
	v_and_b32_e32 v6, -3, v0
	v_mov_b32_e32 v7, v1
	s_mov_b64 s[6:7], 0x53
	v_mov_b32_e32 v27, 0
	v_mov_b32_e32 v4, 2
	;; [unrolled: 1-line block ×3, first 2 shown]
	s_branch .LBB3_555
.LBB3_554:                              ;   in Loop: Header=BB3_555 Depth=1
	s_or_b64 exec, exec, s[20:21]
	s_sub_u32 s6, s6, s10
	s_subb_u32 s7, s7, s11
	s_add_u32 s4, s4, s10
	s_addc_u32 s5, s5, s11
	s_cmp_lg_u64 s[6:7], 0
	s_cbranch_scc0 .LBB3_636
.LBB3_555:                              ; =>This Loop Header: Depth=1
                                        ;     Child Loop BB3_558 Depth 2
                                        ;     Child Loop BB3_565 Depth 2
	;; [unrolled: 1-line block ×11, first 2 shown]
	v_cmp_lt_u64_e64 s[0:1], s[6:7], 56
	s_and_b64 s[0:1], s[0:1], exec
	v_cmp_gt_u64_e64 s[0:1], s[6:7], 7
	s_cselect_b32 s11, s7, 0
	s_cselect_b32 s10, s6, 56
	s_and_b64 vcc, exec, s[0:1]
	s_cbranch_vccnz .LBB3_560
; %bb.556:                              ;   in Loop: Header=BB3_555 Depth=1
	s_mov_b64 s[0:1], 0
	s_cmp_eq_u64 s[6:7], 0
	s_waitcnt vmcnt(0)
	v_mov_b64_e32 v[8:9], 0
	s_cbranch_scc1 .LBB3_559
; %bb.557:                              ;   in Loop: Header=BB3_555 Depth=1
	s_lshl_b64 s[16:17], s[10:11], 3
	s_mov_b64 s[20:21], 0
	v_mov_b64_e32 v[8:9], 0
	s_mov_b64 vcc, s[4:5]
.LBB3_558:                              ;   Parent Loop BB3_555 Depth=1
                                        ; =>  This Inner Loop Header: Depth=2
	global_load_ubyte v2, v27, vcc
	s_waitcnt vmcnt(0)
	v_and_b32_e32 v26, 0xffff, v2
	v_lshlrev_b64 v[2:3], s20, v[26:27]
	s_add_u32 s20, s20, 8
	s_addc_u32 s21, s21, 0
	s_add_u32 vcc_lo, vcc_lo, 1
	s_addc_u32 vcc_hi, vcc_hi, 0
	v_or_b32_e32 v8, v2, v8
	s_cmp_lg_u32 s16, s20
	v_or_b32_e32 v9, v3, v9
	s_cbranch_scc1 .LBB3_558
.LBB3_559:                              ;   in Loop: Header=BB3_555 Depth=1
	s_mov_b32 s15, 0
	s_andn2_b64 vcc, exec, s[0:1]
	s_mov_b64 s[0:1], s[4:5]
	s_cbranch_vccz .LBB3_561
	s_branch .LBB3_562
.LBB3_560:                              ;   in Loop: Header=BB3_555 Depth=1
                                        ; implicit-def: $sgpr15
	s_mov_b64 s[0:1], s[4:5]
.LBB3_561:                              ;   in Loop: Header=BB3_555 Depth=1
	global_load_dwordx2 v[8:9], v27, s[4:5]
	s_add_i32 s15, s10, -8
	s_add_u32 s0, s4, 8
	s_addc_u32 s1, s5, 0
.LBB3_562:                              ;   in Loop: Header=BB3_555 Depth=1
	s_cmp_gt_u32 s15, 7
	s_cbranch_scc1 .LBB3_566
; %bb.563:                              ;   in Loop: Header=BB3_555 Depth=1
	s_cmp_eq_u32 s15, 0
	s_cbranch_scc1 .LBB3_567
; %bb.564:                              ;   in Loop: Header=BB3_555 Depth=1
	s_mov_b64 s[16:17], 0
	v_mov_b64_e32 v[10:11], 0
	s_mov_b64 s[20:21], 0
.LBB3_565:                              ;   Parent Loop BB3_555 Depth=1
                                        ; =>  This Inner Loop Header: Depth=2
	s_add_u32 vcc_lo, s0, s20
	s_addc_u32 vcc_hi, s1, s21
	global_load_ubyte v2, v27, vcc
	s_add_u32 s20, s20, 1
	s_addc_u32 s21, s21, 0
	s_waitcnt vmcnt(0)
	v_and_b32_e32 v26, 0xffff, v2
	v_lshlrev_b64 v[2:3], s16, v[26:27]
	s_add_u32 s16, s16, 8
	s_addc_u32 s17, s17, 0
	v_or_b32_e32 v10, v2, v10
	s_cmp_lg_u32 s15, s20
	v_or_b32_e32 v11, v3, v11
	s_cbranch_scc1 .LBB3_565
	s_branch .LBB3_568
.LBB3_566:                              ;   in Loop: Header=BB3_555 Depth=1
                                        ; implicit-def: $vgpr10_vgpr11
                                        ; implicit-def: $sgpr30
	s_branch .LBB3_569
.LBB3_567:                              ;   in Loop: Header=BB3_555 Depth=1
	v_mov_b64_e32 v[10:11], 0
.LBB3_568:                              ;   in Loop: Header=BB3_555 Depth=1
	s_mov_b32 s30, 0
	s_cbranch_execnz .LBB3_570
.LBB3_569:                              ;   in Loop: Header=BB3_555 Depth=1
	global_load_dwordx2 v[10:11], v27, s[0:1]
	s_add_i32 s30, s15, -8
	s_add_u32 s0, s0, 8
	s_addc_u32 s1, s1, 0
.LBB3_570:                              ;   in Loop: Header=BB3_555 Depth=1
	s_cmp_gt_u32 s30, 7
	s_cbranch_scc1 .LBB3_574
; %bb.571:                              ;   in Loop: Header=BB3_555 Depth=1
	s_cmp_eq_u32 s30, 0
	s_cbranch_scc1 .LBB3_575
; %bb.572:                              ;   in Loop: Header=BB3_555 Depth=1
	s_mov_b64 s[16:17], 0
	v_mov_b64_e32 v[12:13], 0
	s_mov_b64 s[20:21], 0
.LBB3_573:                              ;   Parent Loop BB3_555 Depth=1
                                        ; =>  This Inner Loop Header: Depth=2
	s_add_u32 vcc_lo, s0, s20
	s_addc_u32 vcc_hi, s1, s21
	global_load_ubyte v2, v27, vcc
	s_add_u32 s20, s20, 1
	s_addc_u32 s21, s21, 0
	s_waitcnt vmcnt(0)
	v_and_b32_e32 v26, 0xffff, v2
	v_lshlrev_b64 v[2:3], s16, v[26:27]
	s_add_u32 s16, s16, 8
	s_addc_u32 s17, s17, 0
	v_or_b32_e32 v12, v2, v12
	s_cmp_lg_u32 s30, s20
	v_or_b32_e32 v13, v3, v13
	s_cbranch_scc1 .LBB3_573
	s_branch .LBB3_576
.LBB3_574:                              ;   in Loop: Header=BB3_555 Depth=1
                                        ; implicit-def: $sgpr15
	s_branch .LBB3_577
.LBB3_575:                              ;   in Loop: Header=BB3_555 Depth=1
	v_mov_b64_e32 v[12:13], 0
.LBB3_576:                              ;   in Loop: Header=BB3_555 Depth=1
	s_mov_b32 s15, 0
	s_cbranch_execnz .LBB3_578
.LBB3_577:                              ;   in Loop: Header=BB3_555 Depth=1
	global_load_dwordx2 v[12:13], v27, s[0:1]
	s_add_i32 s15, s30, -8
	s_add_u32 s0, s0, 8
	s_addc_u32 s1, s1, 0
.LBB3_578:                              ;   in Loop: Header=BB3_555 Depth=1
	s_cmp_gt_u32 s15, 7
	s_cbranch_scc1 .LBB3_582
; %bb.579:                              ;   in Loop: Header=BB3_555 Depth=1
	s_cmp_eq_u32 s15, 0
	s_cbranch_scc1 .LBB3_583
; %bb.580:                              ;   in Loop: Header=BB3_555 Depth=1
	s_mov_b64 s[16:17], 0
	v_mov_b64_e32 v[14:15], 0
	s_mov_b64 s[20:21], 0
.LBB3_581:                              ;   Parent Loop BB3_555 Depth=1
                                        ; =>  This Inner Loop Header: Depth=2
	s_add_u32 vcc_lo, s0, s20
	s_addc_u32 vcc_hi, s1, s21
	global_load_ubyte v2, v27, vcc
	s_add_u32 s20, s20, 1
	s_addc_u32 s21, s21, 0
	s_waitcnt vmcnt(0)
	v_and_b32_e32 v26, 0xffff, v2
	v_lshlrev_b64 v[2:3], s16, v[26:27]
	s_add_u32 s16, s16, 8
	s_addc_u32 s17, s17, 0
	v_or_b32_e32 v14, v2, v14
	s_cmp_lg_u32 s15, s20
	v_or_b32_e32 v15, v3, v15
	s_cbranch_scc1 .LBB3_581
	s_branch .LBB3_584
.LBB3_582:                              ;   in Loop: Header=BB3_555 Depth=1
                                        ; implicit-def: $vgpr14_vgpr15
                                        ; implicit-def: $sgpr30
	s_branch .LBB3_585
.LBB3_583:                              ;   in Loop: Header=BB3_555 Depth=1
	v_mov_b64_e32 v[14:15], 0
.LBB3_584:                              ;   in Loop: Header=BB3_555 Depth=1
	s_mov_b32 s30, 0
	s_cbranch_execnz .LBB3_586
.LBB3_585:                              ;   in Loop: Header=BB3_555 Depth=1
	global_load_dwordx2 v[14:15], v27, s[0:1]
	s_add_i32 s30, s15, -8
	s_add_u32 s0, s0, 8
	s_addc_u32 s1, s1, 0
.LBB3_586:                              ;   in Loop: Header=BB3_555 Depth=1
	s_cmp_gt_u32 s30, 7
	s_cbranch_scc1 .LBB3_590
; %bb.587:                              ;   in Loop: Header=BB3_555 Depth=1
	s_cmp_eq_u32 s30, 0
	s_cbranch_scc1 .LBB3_591
; %bb.588:                              ;   in Loop: Header=BB3_555 Depth=1
	s_mov_b64 s[16:17], 0
	v_mov_b64_e32 v[16:17], 0
	s_mov_b64 s[20:21], 0
.LBB3_589:                              ;   Parent Loop BB3_555 Depth=1
                                        ; =>  This Inner Loop Header: Depth=2
	s_add_u32 vcc_lo, s0, s20
	s_addc_u32 vcc_hi, s1, s21
	global_load_ubyte v2, v27, vcc
	s_add_u32 s20, s20, 1
	s_addc_u32 s21, s21, 0
	s_waitcnt vmcnt(0)
	v_and_b32_e32 v26, 0xffff, v2
	v_lshlrev_b64 v[2:3], s16, v[26:27]
	s_add_u32 s16, s16, 8
	s_addc_u32 s17, s17, 0
	v_or_b32_e32 v16, v2, v16
	s_cmp_lg_u32 s30, s20
	v_or_b32_e32 v17, v3, v17
	s_cbranch_scc1 .LBB3_589
	s_branch .LBB3_592
.LBB3_590:                              ;   in Loop: Header=BB3_555 Depth=1
                                        ; implicit-def: $sgpr15
	s_branch .LBB3_593
.LBB3_591:                              ;   in Loop: Header=BB3_555 Depth=1
	v_mov_b64_e32 v[16:17], 0
.LBB3_592:                              ;   in Loop: Header=BB3_555 Depth=1
	s_mov_b32 s15, 0
	s_cbranch_execnz .LBB3_594
.LBB3_593:                              ;   in Loop: Header=BB3_555 Depth=1
	global_load_dwordx2 v[16:17], v27, s[0:1]
	s_add_i32 s15, s30, -8
	s_add_u32 s0, s0, 8
	s_addc_u32 s1, s1, 0
.LBB3_594:                              ;   in Loop: Header=BB3_555 Depth=1
	s_cmp_gt_u32 s15, 7
	s_cbranch_scc1 .LBB3_598
; %bb.595:                              ;   in Loop: Header=BB3_555 Depth=1
	s_cmp_eq_u32 s15, 0
	s_cbranch_scc1 .LBB3_599
; %bb.596:                              ;   in Loop: Header=BB3_555 Depth=1
	s_mov_b64 s[16:17], 0
	v_mov_b64_e32 v[18:19], 0
	s_mov_b64 s[20:21], 0
.LBB3_597:                              ;   Parent Loop BB3_555 Depth=1
                                        ; =>  This Inner Loop Header: Depth=2
	s_add_u32 vcc_lo, s0, s20
	s_addc_u32 vcc_hi, s1, s21
	global_load_ubyte v2, v27, vcc
	s_add_u32 s20, s20, 1
	s_addc_u32 s21, s21, 0
	s_waitcnt vmcnt(0)
	v_and_b32_e32 v26, 0xffff, v2
	v_lshlrev_b64 v[2:3], s16, v[26:27]
	s_add_u32 s16, s16, 8
	s_addc_u32 s17, s17, 0
	v_or_b32_e32 v18, v2, v18
	s_cmp_lg_u32 s15, s20
	v_or_b32_e32 v19, v3, v19
	s_cbranch_scc1 .LBB3_597
	s_branch .LBB3_600
.LBB3_598:                              ;   in Loop: Header=BB3_555 Depth=1
                                        ; implicit-def: $vgpr18_vgpr19
                                        ; implicit-def: $sgpr30
	s_branch .LBB3_601
.LBB3_599:                              ;   in Loop: Header=BB3_555 Depth=1
	v_mov_b64_e32 v[18:19], 0
.LBB3_600:                              ;   in Loop: Header=BB3_555 Depth=1
	s_mov_b32 s30, 0
	s_cbranch_execnz .LBB3_602
.LBB3_601:                              ;   in Loop: Header=BB3_555 Depth=1
	global_load_dwordx2 v[18:19], v27, s[0:1]
	s_add_i32 s30, s15, -8
	s_add_u32 s0, s0, 8
	s_addc_u32 s1, s1, 0
.LBB3_602:                              ;   in Loop: Header=BB3_555 Depth=1
	s_cmp_gt_u32 s30, 7
	s_cbranch_scc1 .LBB3_606
; %bb.603:                              ;   in Loop: Header=BB3_555 Depth=1
	s_cmp_eq_u32 s30, 0
	s_cbranch_scc1 .LBB3_607
; %bb.604:                              ;   in Loop: Header=BB3_555 Depth=1
	s_mov_b64 s[16:17], 0
	v_mov_b64_e32 v[20:21], 0
	s_mov_b64 s[20:21], s[0:1]
.LBB3_605:                              ;   Parent Loop BB3_555 Depth=1
                                        ; =>  This Inner Loop Header: Depth=2
	global_load_ubyte v2, v27, s[20:21]
	s_add_i32 s30, s30, -1
	s_waitcnt vmcnt(0)
	v_and_b32_e32 v26, 0xffff, v2
	v_lshlrev_b64 v[2:3], s16, v[26:27]
	s_add_u32 s16, s16, 8
	s_addc_u32 s17, s17, 0
	s_add_u32 s20, s20, 1
	s_addc_u32 s21, s21, 0
	v_or_b32_e32 v20, v2, v20
	s_cmp_lg_u32 s30, 0
	v_or_b32_e32 v21, v3, v21
	s_cbranch_scc1 .LBB3_605
	s_branch .LBB3_608
.LBB3_606:                              ;   in Loop: Header=BB3_555 Depth=1
	s_branch .LBB3_609
.LBB3_607:                              ;   in Loop: Header=BB3_555 Depth=1
	v_mov_b64_e32 v[20:21], 0
.LBB3_608:                              ;   in Loop: Header=BB3_555 Depth=1
	s_cbranch_execnz .LBB3_610
.LBB3_609:                              ;   in Loop: Header=BB3_555 Depth=1
	global_load_dwordx2 v[20:21], v27, s[0:1]
.LBB3_610:                              ;   in Loop: Header=BB3_555 Depth=1
	v_readfirstlane_b32 s0, v37
	v_mov_b64_e32 v[2:3], 0
	s_nop 0
	v_cmp_eq_u32_e64 s[0:1], s0, v37
	s_and_saveexec_b64 s[16:17], s[0:1]
	s_cbranch_execz .LBB3_616
; %bb.611:                              ;   in Loop: Header=BB3_555 Depth=1
	global_load_dwordx2 v[24:25], v27, s[26:27] offset:24 sc0 sc1
	s_waitcnt vmcnt(0)
	buffer_inv sc0 sc1
	global_load_dwordx2 v[2:3], v27, s[26:27] offset:40
	global_load_dwordx2 v[22:23], v27, s[26:27]
	s_waitcnt vmcnt(1)
	v_and_b32_e32 v2, v2, v24
	v_and_b32_e32 v3, v3, v25
	v_mul_lo_u32 v3, v3, 24
	v_mul_hi_u32 v26, v2, 24
	v_add_u32_e32 v3, v26, v3
	v_mul_lo_u32 v2, v2, 24
	s_waitcnt vmcnt(0)
	v_lshl_add_u64 v[2:3], v[22:23], 0, v[2:3]
	global_load_dwordx2 v[22:23], v[2:3], off sc0 sc1
	s_waitcnt vmcnt(0)
	global_atomic_cmpswap_x2 v[2:3], v27, v[22:25], s[26:27] offset:24 sc0 sc1
	s_waitcnt vmcnt(0)
	buffer_inv sc0 sc1
	v_cmp_ne_u64_e32 vcc, v[2:3], v[24:25]
	s_and_saveexec_b64 s[20:21], vcc
	s_cbranch_execz .LBB3_615
; %bb.612:                              ;   in Loop: Header=BB3_555 Depth=1
	s_mov_b64 s[30:31], 0
.LBB3_613:                              ;   Parent Loop BB3_555 Depth=1
                                        ; =>  This Inner Loop Header: Depth=2
	s_sleep 1
	global_load_dwordx2 v[22:23], v27, s[26:27] offset:40
	global_load_dwordx2 v[28:29], v27, s[26:27]
	v_mov_b64_e32 v[24:25], v[2:3]
	s_waitcnt vmcnt(1)
	v_and_b32_e32 v2, v22, v24
	s_waitcnt vmcnt(0)
	v_mad_u64_u32 v[2:3], vcc, v2, 24, v[28:29]
	v_and_b32_e32 v23, v23, v25
	v_mov_b32_e32 v22, v3
	v_mad_u64_u32 v[22:23], vcc, v23, 24, v[22:23]
	v_mov_b32_e32 v3, v22
	global_load_dwordx2 v[22:23], v[2:3], off sc0 sc1
	s_waitcnt vmcnt(0)
	global_atomic_cmpswap_x2 v[2:3], v27, v[22:25], s[26:27] offset:24 sc0 sc1
	s_waitcnt vmcnt(0)
	buffer_inv sc0 sc1
	v_cmp_eq_u64_e32 vcc, v[2:3], v[24:25]
	s_or_b64 s[30:31], vcc, s[30:31]
	s_andn2_b64 exec, exec, s[30:31]
	s_cbranch_execnz .LBB3_613
; %bb.614:                              ;   in Loop: Header=BB3_555 Depth=1
	s_or_b64 exec, exec, s[30:31]
.LBB3_615:                              ;   in Loop: Header=BB3_555 Depth=1
	s_or_b64 exec, exec, s[20:21]
.LBB3_616:                              ;   in Loop: Header=BB3_555 Depth=1
	s_or_b64 exec, exec, s[16:17]
	global_load_dwordx2 v[28:29], v27, s[26:27] offset:40
	global_load_dwordx4 v[22:25], v27, s[26:27]
	v_readfirstlane_b32 s16, v2
	v_readfirstlane_b32 s17, v3
	s_mov_b64 s[20:21], exec
	s_waitcnt vmcnt(1)
	v_readfirstlane_b32 vcc_lo, v28
	v_readfirstlane_b32 vcc_hi, v29
	s_and_b64 vcc, s[16:17], vcc
	s_mul_i32 s15, vcc_hi, 24
	s_mul_hi_u32 s30, vcc_lo, 24
	s_add_i32 s31, s30, s15
	s_mul_i32 s30, vcc_lo, 24
	s_waitcnt vmcnt(0)
	v_lshl_add_u64 v[28:29], v[22:23], 0, s[30:31]
	s_and_saveexec_b64 s[30:31], s[0:1]
	s_cbranch_execz .LBB3_618
; %bb.617:                              ;   in Loop: Header=BB3_555 Depth=1
	v_mov_b64_e32 v[2:3], s[20:21]
	global_store_dwordx4 v[28:29], v[2:5], off offset:8
.LBB3_618:                              ;   in Loop: Header=BB3_555 Depth=1
	s_or_b64 exec, exec, s[30:31]
	s_lshl_b64 s[20:21], vcc, 12
	v_lshl_add_u64 v[2:3], v[24:25], 0, s[20:21]
	v_or_b32_e32 v24, 2, v6
	v_cmp_gt_u64_e64 vcc, s[6:7], 56
	s_lshl_b32 s15, s10, 2
	s_add_i32 s15, s15, 28
	v_cndmask_b32_e32 v6, v24, v6, vcc
	s_and_b32 s15, s15, 0x1e0
	v_and_b32_e32 v6, 0xffffff1f, v6
	v_or_b32_e32 v6, s15, v6
	v_readfirstlane_b32 s20, v2
	v_readfirstlane_b32 s21, v3
	s_nop 4
	global_store_dwordx4 v48, v[6:9], s[20:21]
	global_store_dwordx4 v48, v[10:13], s[20:21] offset:16
	global_store_dwordx4 v48, v[14:17], s[20:21] offset:32
	;; [unrolled: 1-line block ×3, first 2 shown]
	s_and_saveexec_b64 s[20:21], s[0:1]
	s_cbranch_execz .LBB3_626
; %bb.619:                              ;   in Loop: Header=BB3_555 Depth=1
	global_load_dwordx2 v[14:15], v27, s[26:27] offset:32 sc0 sc1
	global_load_dwordx2 v[6:7], v27, s[26:27] offset:40
	v_mov_b32_e32 v12, s16
	v_mov_b32_e32 v13, s17
	s_waitcnt vmcnt(0)
	v_readfirstlane_b32 vcc_lo, v6
	v_readfirstlane_b32 vcc_hi, v7
	s_and_b64 vcc, vcc, s[16:17]
	s_mul_i32 s15, vcc_hi, 24
	s_mul_hi_u32 vcc_hi, vcc_lo, 24
	s_mul_i32 vcc_lo, vcc_lo, 24
	s_add_i32 vcc_hi, vcc_hi, s15
	v_lshl_add_u64 v[10:11], v[22:23], 0, vcc
	global_store_dwordx2 v[10:11], v[14:15], off
	buffer_wbl2 sc0 sc1
	s_waitcnt vmcnt(0)
	global_atomic_cmpswap_x2 v[8:9], v27, v[12:15], s[26:27] offset:32 sc0 sc1
	s_waitcnt vmcnt(0)
	v_cmp_ne_u64_e32 vcc, v[8:9], v[14:15]
	s_and_saveexec_b64 s[30:31], vcc
	s_cbranch_execz .LBB3_622
; %bb.620:                              ;   in Loop: Header=BB3_555 Depth=1
	s_mov_b64 s[34:35], 0
.LBB3_621:                              ;   Parent Loop BB3_555 Depth=1
                                        ; =>  This Inner Loop Header: Depth=2
	s_sleep 1
	global_store_dwordx2 v[10:11], v[8:9], off
	v_mov_b32_e32 v6, s16
	v_mov_b32_e32 v7, s17
	buffer_wbl2 sc0 sc1
	s_waitcnt vmcnt(0)
	global_atomic_cmpswap_x2 v[6:7], v27, v[6:9], s[26:27] offset:32 sc0 sc1
	s_waitcnt vmcnt(0)
	v_cmp_eq_u64_e32 vcc, v[6:7], v[8:9]
	s_or_b64 s[34:35], vcc, s[34:35]
	v_mov_b64_e32 v[8:9], v[6:7]
	s_andn2_b64 exec, exec, s[34:35]
	s_cbranch_execnz .LBB3_621
.LBB3_622:                              ;   in Loop: Header=BB3_555 Depth=1
	s_or_b64 exec, exec, s[30:31]
	global_load_dwordx2 v[6:7], v27, s[26:27] offset:16
	s_mov_b64 s[34:35], exec
	v_mbcnt_lo_u32_b32 v8, s34, 0
	v_mbcnt_hi_u32_b32 v8, s35, v8
	v_cmp_eq_u32_e32 vcc, 0, v8
	s_and_saveexec_b64 s[30:31], vcc
	s_cbranch_execz .LBB3_624
; %bb.623:                              ;   in Loop: Header=BB3_555 Depth=1
	s_bcnt1_i32_b64 s15, s[34:35]
	v_mov_b32_e32 v26, s15
	buffer_wbl2 sc0 sc1
	s_waitcnt vmcnt(0)
	global_atomic_add_x2 v[6:7], v[26:27], off offset:8 sc1
.LBB3_624:                              ;   in Loop: Header=BB3_555 Depth=1
	s_or_b64 exec, exec, s[30:31]
	s_waitcnt vmcnt(0)
	global_load_dwordx2 v[8:9], v[6:7], off offset:16
	s_waitcnt vmcnt(0)
	v_cmp_eq_u64_e32 vcc, 0, v[8:9]
	s_cbranch_vccnz .LBB3_626
; %bb.625:                              ;   in Loop: Header=BB3_555 Depth=1
	global_load_dword v26, v[6:7], off offset:24
	s_waitcnt vmcnt(0)
	v_and_b32_e32 v6, 0xffffff, v26
	s_nop 0
	v_readfirstlane_b32 m0, v6
	buffer_wbl2 sc0 sc1
	global_store_dwordx2 v[8:9], v[26:27], off sc0 sc1
	s_sendmsg sendmsg(MSG_INTERRUPT)
.LBB3_626:                              ;   in Loop: Header=BB3_555 Depth=1
	s_or_b64 exec, exec, s[20:21]
	v_mov_b32_e32 v49, v27
	v_lshl_add_u64 v[2:3], v[2:3], 0, v[48:49]
	s_branch .LBB3_630
.LBB3_627:                              ;   in Loop: Header=BB3_630 Depth=2
	s_or_b64 exec, exec, s[20:21]
	v_readfirstlane_b32 s15, v6
	s_cmp_eq_u32 s15, 0
	s_cbranch_scc1 .LBB3_629
; %bb.628:                              ;   in Loop: Header=BB3_630 Depth=2
	s_sleep 1
	s_cbranch_execnz .LBB3_630
	s_branch .LBB3_632
.LBB3_629:                              ;   in Loop: Header=BB3_555 Depth=1
	s_branch .LBB3_632
.LBB3_630:                              ;   Parent Loop BB3_555 Depth=1
                                        ; =>  This Inner Loop Header: Depth=2
	v_mov_b32_e32 v6, 1
	s_and_saveexec_b64 s[20:21], s[0:1]
	s_cbranch_execz .LBB3_627
; %bb.631:                              ;   in Loop: Header=BB3_630 Depth=2
	global_load_dword v6, v[28:29], off offset:20 sc0 sc1
	s_waitcnt vmcnt(0)
	buffer_inv sc0 sc1
	v_and_b32_e32 v6, 1, v6
	s_branch .LBB3_627
.LBB3_632:                              ;   in Loop: Header=BB3_555 Depth=1
	global_load_dwordx4 v[6:9], v[2:3], off
	s_and_saveexec_b64 s[20:21], s[0:1]
	s_cbranch_execz .LBB3_554
; %bb.633:                              ;   in Loop: Header=BB3_555 Depth=1
	global_load_dwordx2 v[2:3], v27, s[26:27] offset:40
	global_load_dwordx2 v[12:13], v27, s[26:27] offset:24 sc0 sc1
	global_load_dwordx2 v[14:15], v27, s[26:27]
	s_waitcnt vmcnt(2)
	v_lshl_add_u64 v[8:9], v[2:3], 0, 1
	v_lshl_add_u64 v[16:17], v[8:9], 0, s[16:17]
	v_cmp_eq_u64_e32 vcc, 0, v[16:17]
	s_waitcnt vmcnt(1)
	v_mov_b32_e32 v10, v12
	v_cndmask_b32_e32 v9, v17, v9, vcc
	v_cndmask_b32_e32 v8, v16, v8, vcc
	v_and_b32_e32 v3, v9, v3
	v_and_b32_e32 v2, v8, v2
	v_mul_lo_u32 v3, v3, 24
	v_mul_hi_u32 v11, v2, 24
	v_mul_lo_u32 v2, v2, 24
	v_add_u32_e32 v3, v11, v3
	s_waitcnt vmcnt(0)
	v_lshl_add_u64 v[2:3], v[14:15], 0, v[2:3]
	global_store_dwordx2 v[2:3], v[12:13], off
	v_mov_b32_e32 v11, v13
	buffer_wbl2 sc0 sc1
	s_waitcnt vmcnt(0)
	global_atomic_cmpswap_x2 v[10:11], v27, v[8:11], s[26:27] offset:24 sc0 sc1
	s_waitcnt vmcnt(0)
	v_cmp_ne_u64_e32 vcc, v[10:11], v[12:13]
	s_and_b64 exec, exec, vcc
	s_cbranch_execz .LBB3_554
; %bb.634:                              ;   in Loop: Header=BB3_555 Depth=1
	s_mov_b64 s[0:1], 0
.LBB3_635:                              ;   Parent Loop BB3_555 Depth=1
                                        ; =>  This Inner Loop Header: Depth=2
	s_sleep 1
	global_store_dwordx2 v[2:3], v[10:11], off
	buffer_wbl2 sc0 sc1
	s_waitcnt vmcnt(0)
	global_atomic_cmpswap_x2 v[12:13], v27, v[8:11], s[26:27] offset:24 sc0 sc1
	s_waitcnt vmcnt(0)
	v_cmp_eq_u64_e32 vcc, v[12:13], v[10:11]
	s_or_b64 s[0:1], vcc, s[0:1]
	v_mov_b64_e32 v[10:11], v[12:13]
	s_andn2_b64 exec, exec, s[0:1]
	s_cbranch_execnz .LBB3_635
	s_branch .LBB3_554
.LBB3_636:
	s_branch .LBB3_664
.LBB3_637:
	s_cbranch_execz .LBB3_664
; %bb.638:
	v_readfirstlane_b32 s0, v37
	s_waitcnt vmcnt(0)
	v_mov_b64_e32 v[8:9], 0
	v_cmp_eq_u32_e64 s[0:1], s0, v37
	s_and_saveexec_b64 s[4:5], s[0:1]
	s_cbranch_execz .LBB3_644
; %bb.639:
	v_mov_b32_e32 v2, 0
	global_load_dwordx2 v[6:7], v2, s[26:27] offset:24 sc0 sc1
	s_waitcnt vmcnt(0)
	buffer_inv sc0 sc1
	global_load_dwordx2 v[4:5], v2, s[26:27] offset:40
	global_load_dwordx2 v[8:9], v2, s[26:27]
	s_waitcnt vmcnt(1)
	v_and_b32_e32 v3, v4, v6
	v_and_b32_e32 v4, v5, v7
	v_mul_lo_u32 v4, v4, 24
	v_mul_hi_u32 v5, v3, 24
	v_add_u32_e32 v5, v5, v4
	v_mul_lo_u32 v4, v3, 24
	s_waitcnt vmcnt(0)
	v_lshl_add_u64 v[4:5], v[8:9], 0, v[4:5]
	global_load_dwordx2 v[4:5], v[4:5], off sc0 sc1
	s_waitcnt vmcnt(0)
	global_atomic_cmpswap_x2 v[8:9], v2, v[4:7], s[26:27] offset:24 sc0 sc1
	s_waitcnt vmcnt(0)
	buffer_inv sc0 sc1
	v_cmp_ne_u64_e32 vcc, v[8:9], v[6:7]
	s_and_saveexec_b64 s[6:7], vcc
	s_cbranch_execz .LBB3_643
; %bb.640:
	s_mov_b64 s[10:11], 0
.LBB3_641:                              ; =>This Inner Loop Header: Depth=1
	s_sleep 1
	global_load_dwordx2 v[4:5], v2, s[26:27] offset:40
	global_load_dwordx2 v[10:11], v2, s[26:27]
	v_mov_b64_e32 v[6:7], v[8:9]
	s_waitcnt vmcnt(1)
	v_and_b32_e32 v4, v4, v6
	v_and_b32_e32 v3, v5, v7
	s_waitcnt vmcnt(0)
	v_mad_u64_u32 v[4:5], s[16:17], v4, 24, v[10:11]
	v_mov_b32_e32 v8, v5
	v_mad_u64_u32 v[8:9], s[16:17], v3, 24, v[8:9]
	v_mov_b32_e32 v5, v8
	global_load_dwordx2 v[4:5], v[4:5], off sc0 sc1
	s_waitcnt vmcnt(0)
	global_atomic_cmpswap_x2 v[8:9], v2, v[4:7], s[26:27] offset:24 sc0 sc1
	s_waitcnt vmcnt(0)
	buffer_inv sc0 sc1
	v_cmp_eq_u64_e32 vcc, v[8:9], v[6:7]
	s_or_b64 s[10:11], vcc, s[10:11]
	s_andn2_b64 exec, exec, s[10:11]
	s_cbranch_execnz .LBB3_641
; %bb.642:
	s_or_b64 exec, exec, s[10:11]
.LBB3_643:
	s_or_b64 exec, exec, s[6:7]
.LBB3_644:
	s_or_b64 exec, exec, s[4:5]
	v_mov_b32_e32 v2, 0
	global_load_dwordx2 v[10:11], v2, s[26:27] offset:40
	global_load_dwordx4 v[4:7], v2, s[26:27]
	v_readfirstlane_b32 s4, v8
	v_readfirstlane_b32 s5, v9
	s_mov_b64 s[6:7], exec
	s_waitcnt vmcnt(1)
	v_readfirstlane_b32 s10, v10
	v_readfirstlane_b32 s11, v11
	s_and_b64 s[10:11], s[4:5], s[10:11]
	s_mul_i32 s15, s11, 24
	s_mul_hi_u32 s16, s10, 24
	s_add_i32 s17, s16, s15
	s_mul_i32 s16, s10, 24
	s_waitcnt vmcnt(0)
	v_lshl_add_u64 v[8:9], v[4:5], 0, s[16:17]
	s_and_saveexec_b64 s[16:17], s[0:1]
	s_cbranch_execz .LBB3_646
; %bb.645:
	v_mov_b64_e32 v[10:11], s[6:7]
	v_mov_b32_e32 v12, 2
	v_mov_b32_e32 v13, 1
	global_store_dwordx4 v[8:9], v[10:13], off offset:8
.LBB3_646:
	s_or_b64 exec, exec, s[16:17]
	s_lshl_b64 s[6:7], s[10:11], 12
	v_lshl_add_u64 v[6:7], v[6:7], 0, s[6:7]
	s_movk_i32 s6, 0xff1d
	s_mov_b32 s36, 0
	v_and_or_b32 v0, v0, s6, 34
	v_mov_b32_e32 v3, v2
	v_readfirstlane_b32 s6, v6
	v_readfirstlane_b32 s7, v7
	s_mov_b32 s37, s36
	s_mov_b32 s38, s36
	;; [unrolled: 1-line block ×3, first 2 shown]
	s_nop 1
	global_store_dwordx4 v48, v[0:3], s[6:7]
	s_nop 1
	v_mov_b64_e32 v[0:1], s[36:37]
	v_mov_b64_e32 v[2:3], s[38:39]
	global_store_dwordx4 v48, v[0:3], s[6:7] offset:16
	global_store_dwordx4 v48, v[0:3], s[6:7] offset:32
	;; [unrolled: 1-line block ×3, first 2 shown]
	s_and_saveexec_b64 s[6:7], s[0:1]
	s_cbranch_execz .LBB3_654
; %bb.647:
	v_mov_b32_e32 v6, 0
	global_load_dwordx2 v[12:13], v6, s[26:27] offset:32 sc0 sc1
	global_load_dwordx2 v[0:1], v6, s[26:27] offset:40
	v_mov_b32_e32 v10, s4
	v_mov_b32_e32 v11, s5
	s_waitcnt vmcnt(0)
	v_readfirstlane_b32 s10, v0
	v_readfirstlane_b32 s11, v1
	s_and_b64 s[10:11], s[10:11], s[4:5]
	s_mul_i32 s11, s11, 24
	s_mul_hi_u32 s15, s10, 24
	s_mul_i32 s10, s10, 24
	s_add_i32 s11, s15, s11
	v_lshl_add_u64 v[4:5], v[4:5], 0, s[10:11]
	global_store_dwordx2 v[4:5], v[12:13], off
	buffer_wbl2 sc0 sc1
	s_waitcnt vmcnt(0)
	global_atomic_cmpswap_x2 v[2:3], v6, v[10:13], s[26:27] offset:32 sc0 sc1
	s_waitcnt vmcnt(0)
	v_cmp_ne_u64_e32 vcc, v[2:3], v[12:13]
	s_and_saveexec_b64 s[10:11], vcc
	s_cbranch_execz .LBB3_650
; %bb.648:
	s_mov_b64 s[16:17], 0
.LBB3_649:                              ; =>This Inner Loop Header: Depth=1
	s_sleep 1
	global_store_dwordx2 v[4:5], v[2:3], off
	v_mov_b32_e32 v0, s4
	v_mov_b32_e32 v1, s5
	buffer_wbl2 sc0 sc1
	s_waitcnt vmcnt(0)
	global_atomic_cmpswap_x2 v[0:1], v6, v[0:3], s[26:27] offset:32 sc0 sc1
	s_waitcnt vmcnt(0)
	v_cmp_eq_u64_e32 vcc, v[0:1], v[2:3]
	s_or_b64 s[16:17], vcc, s[16:17]
	v_mov_b64_e32 v[2:3], v[0:1]
	s_andn2_b64 exec, exec, s[16:17]
	s_cbranch_execnz .LBB3_649
.LBB3_650:
	s_or_b64 exec, exec, s[10:11]
	v_mov_b32_e32 v3, 0
	global_load_dwordx2 v[0:1], v3, s[26:27] offset:16
	s_mov_b64 s[10:11], exec
	v_mbcnt_lo_u32_b32 v2, s10, 0
	v_mbcnt_hi_u32_b32 v2, s11, v2
	v_cmp_eq_u32_e32 vcc, 0, v2
	s_and_saveexec_b64 s[16:17], vcc
	s_cbranch_execz .LBB3_652
; %bb.651:
	s_bcnt1_i32_b64 s10, s[10:11]
	v_mov_b32_e32 v2, s10
	buffer_wbl2 sc0 sc1
	s_waitcnt vmcnt(0)
	global_atomic_add_x2 v[0:1], v[2:3], off offset:8 sc1
.LBB3_652:
	s_or_b64 exec, exec, s[16:17]
	s_waitcnt vmcnt(0)
	global_load_dwordx2 v[2:3], v[0:1], off offset:16
	s_waitcnt vmcnt(0)
	v_cmp_eq_u64_e32 vcc, 0, v[2:3]
	s_cbranch_vccnz .LBB3_654
; %bb.653:
	global_load_dword v0, v[0:1], off offset:24
	v_mov_b32_e32 v1, 0
	buffer_wbl2 sc0 sc1
	s_waitcnt vmcnt(0)
	global_store_dwordx2 v[2:3], v[0:1], off sc0 sc1
	v_and_b32_e32 v0, 0xffffff, v0
	s_nop 0
	v_readfirstlane_b32 m0, v0
	s_sendmsg sendmsg(MSG_INTERRUPT)
.LBB3_654:
	s_or_b64 exec, exec, s[6:7]
	s_branch .LBB3_658
.LBB3_655:                              ;   in Loop: Header=BB3_658 Depth=1
	s_or_b64 exec, exec, s[6:7]
	v_readfirstlane_b32 s6, v0
	s_cmp_eq_u32 s6, 0
	s_cbranch_scc1 .LBB3_657
; %bb.656:                              ;   in Loop: Header=BB3_658 Depth=1
	s_sleep 1
	s_cbranch_execnz .LBB3_658
	s_branch .LBB3_660
.LBB3_657:
	s_branch .LBB3_660
.LBB3_658:                              ; =>This Inner Loop Header: Depth=1
	v_mov_b32_e32 v0, 1
	s_and_saveexec_b64 s[6:7], s[0:1]
	s_cbranch_execz .LBB3_655
; %bb.659:                              ;   in Loop: Header=BB3_658 Depth=1
	global_load_dword v0, v[8:9], off offset:20 sc0 sc1
	s_waitcnt vmcnt(0)
	buffer_inv sc0 sc1
	v_and_b32_e32 v0, 1, v0
	s_branch .LBB3_655
.LBB3_660:
	s_and_saveexec_b64 s[6:7], s[0:1]
	s_cbranch_execz .LBB3_663
; %bb.661:
	v_mov_b32_e32 v6, 0
	global_load_dwordx2 v[4:5], v6, s[26:27] offset:40
	global_load_dwordx2 v[8:9], v6, s[26:27] offset:24 sc0 sc1
	global_load_dwordx2 v[10:11], v6, s[26:27]
	s_mov_b64 s[0:1], 0
	s_waitcnt vmcnt(2)
	v_lshl_add_u64 v[0:1], v[4:5], 0, 1
	v_lshl_add_u64 v[12:13], v[0:1], 0, s[4:5]
	v_cmp_eq_u64_e32 vcc, 0, v[12:13]
	s_waitcnt vmcnt(1)
	v_mov_b32_e32 v2, v8
	v_cndmask_b32_e32 v1, v13, v1, vcc
	v_cndmask_b32_e32 v0, v12, v0, vcc
	v_and_b32_e32 v3, v1, v5
	v_and_b32_e32 v4, v0, v4
	v_mul_lo_u32 v3, v3, 24
	v_mul_hi_u32 v5, v4, 24
	v_mul_lo_u32 v4, v4, 24
	v_add_u32_e32 v5, v5, v3
	s_waitcnt vmcnt(0)
	v_lshl_add_u64 v[4:5], v[10:11], 0, v[4:5]
	global_store_dwordx2 v[4:5], v[8:9], off
	v_mov_b32_e32 v3, v9
	buffer_wbl2 sc0 sc1
	s_waitcnt vmcnt(0)
	global_atomic_cmpswap_x2 v[2:3], v6, v[0:3], s[26:27] offset:24 sc0 sc1
	s_waitcnt vmcnt(0)
	v_cmp_ne_u64_e32 vcc, v[2:3], v[8:9]
	s_and_b64 exec, exec, vcc
	s_cbranch_execz .LBB3_663
.LBB3_662:                              ; =>This Inner Loop Header: Depth=1
	s_sleep 1
	global_store_dwordx2 v[4:5], v[2:3], off
	buffer_wbl2 sc0 sc1
	s_waitcnt vmcnt(0)
	global_atomic_cmpswap_x2 v[8:9], v6, v[0:3], s[26:27] offset:24 sc0 sc1
	s_waitcnt vmcnt(0)
	v_cmp_eq_u64_e32 vcc, v[8:9], v[2:3]
	s_or_b64 s[0:1], vcc, s[0:1]
	v_mov_b64_e32 v[2:3], v[8:9]
	s_andn2_b64 exec, exec, s[0:1]
	s_cbranch_execnz .LBB3_662
.LBB3_663:
	s_or_b64 exec, exec, s[6:7]
.LBB3_664:
	v_readfirstlane_b32 s0, v37
	s_waitcnt vmcnt(0)
	v_mov_b64_e32 v[4:5], 0
	v_cmp_eq_u32_e64 s[0:1], s0, v37
	s_and_saveexec_b64 s[4:5], s[0:1]
	s_cbranch_execz .LBB3_670
; %bb.665:
	v_mov_b32_e32 v0, 0
	global_load_dwordx2 v[6:7], v0, s[26:27] offset:24 sc0 sc1
	s_waitcnt vmcnt(0)
	buffer_inv sc0 sc1
	global_load_dwordx2 v[2:3], v0, s[26:27] offset:40
	global_load_dwordx2 v[4:5], v0, s[26:27]
	s_waitcnt vmcnt(1)
	v_and_b32_e32 v1, v2, v6
	v_and_b32_e32 v2, v3, v7
	v_mul_lo_u32 v2, v2, 24
	v_mul_hi_u32 v3, v1, 24
	v_add_u32_e32 v3, v3, v2
	v_mul_lo_u32 v2, v1, 24
	s_waitcnt vmcnt(0)
	v_lshl_add_u64 v[2:3], v[4:5], 0, v[2:3]
	global_load_dwordx2 v[4:5], v[2:3], off sc0 sc1
	s_waitcnt vmcnt(0)
	global_atomic_cmpswap_x2 v[4:5], v0, v[4:7], s[26:27] offset:24 sc0 sc1
	s_waitcnt vmcnt(0)
	buffer_inv sc0 sc1
	v_cmp_ne_u64_e32 vcc, v[4:5], v[6:7]
	s_and_saveexec_b64 s[6:7], vcc
	s_cbranch_execz .LBB3_669
; %bb.666:
	s_mov_b64 s[10:11], 0
.LBB3_667:                              ; =>This Inner Loop Header: Depth=1
	s_sleep 1
	global_load_dwordx2 v[2:3], v0, s[26:27] offset:40
	global_load_dwordx2 v[8:9], v0, s[26:27]
	v_mov_b64_e32 v[6:7], v[4:5]
	s_waitcnt vmcnt(1)
	v_and_b32_e32 v2, v2, v6
	v_and_b32_e32 v1, v3, v7
	s_waitcnt vmcnt(0)
	v_mad_u64_u32 v[2:3], s[16:17], v2, 24, v[8:9]
	v_mov_b32_e32 v4, v3
	v_mad_u64_u32 v[4:5], s[16:17], v1, 24, v[4:5]
	v_mov_b32_e32 v3, v4
	global_load_dwordx2 v[4:5], v[2:3], off sc0 sc1
	s_waitcnt vmcnt(0)
	global_atomic_cmpswap_x2 v[4:5], v0, v[4:7], s[26:27] offset:24 sc0 sc1
	s_waitcnt vmcnt(0)
	buffer_inv sc0 sc1
	v_cmp_eq_u64_e32 vcc, v[4:5], v[6:7]
	s_or_b64 s[10:11], vcc, s[10:11]
	s_andn2_b64 exec, exec, s[10:11]
	s_cbranch_execnz .LBB3_667
; %bb.668:
	s_or_b64 exec, exec, s[10:11]
.LBB3_669:
	s_or_b64 exec, exec, s[6:7]
.LBB3_670:
	s_or_b64 exec, exec, s[4:5]
	v_mov_b32_e32 v49, 0
	global_load_dwordx2 v[6:7], v49, s[26:27] offset:40
	global_load_dwordx4 v[0:3], v49, s[26:27]
	v_readfirstlane_b32 s4, v4
	v_readfirstlane_b32 s5, v5
	s_mov_b64 s[6:7], exec
	s_waitcnt vmcnt(1)
	v_readfirstlane_b32 s10, v6
	v_readfirstlane_b32 s11, v7
	s_and_b64 s[10:11], s[4:5], s[10:11]
	s_mul_i32 s15, s11, 24
	s_mul_hi_u32 s16, s10, 24
	s_add_i32 s17, s16, s15
	s_mul_i32 s16, s10, 24
	s_waitcnt vmcnt(0)
	v_lshl_add_u64 v[4:5], v[0:1], 0, s[16:17]
	s_and_saveexec_b64 s[16:17], s[0:1]
	s_cbranch_execz .LBB3_672
; %bb.671:
	v_mov_b64_e32 v[6:7], s[6:7]
	v_mov_b32_e32 v8, 2
	v_mov_b32_e32 v9, 1
	global_store_dwordx4 v[4:5], v[6:9], off offset:8
.LBB3_672:
	s_or_b64 exec, exec, s[16:17]
	s_lshl_b64 s[6:7], s[10:11], 12
	v_lshl_add_u64 v[6:7], v[2:3], 0, s[6:7]
	s_mov_b32 s36, 0
	v_mov_b32_e32 v8, 33
	v_mov_b32_e32 v9, v49
	;; [unrolled: 1-line block ×4, first 2 shown]
	v_readfirstlane_b32 s6, v6
	v_readfirstlane_b32 s7, v7
	s_mov_b32 s37, s36
	s_mov_b32 s38, s36
	;; [unrolled: 1-line block ×3, first 2 shown]
	s_nop 1
	global_store_dwordx4 v48, v[8:11], s[6:7]
	s_nop 1
	v_mov_b64_e32 v[8:9], s[36:37]
	v_mov_b64_e32 v[10:11], s[38:39]
	global_store_dwordx4 v48, v[8:11], s[6:7] offset:16
	global_store_dwordx4 v48, v[8:11], s[6:7] offset:32
	;; [unrolled: 1-line block ×3, first 2 shown]
	s_and_saveexec_b64 s[6:7], s[0:1]
	s_cbranch_execz .LBB3_680
; %bb.673:
	v_mov_b32_e32 v10, 0
	global_load_dwordx2 v[14:15], v10, s[26:27] offset:32 sc0 sc1
	global_load_dwordx2 v[2:3], v10, s[26:27] offset:40
	v_mov_b32_e32 v12, s4
	v_mov_b32_e32 v13, s5
	s_waitcnt vmcnt(0)
	v_readfirstlane_b32 s10, v2
	v_readfirstlane_b32 s11, v3
	s_and_b64 s[10:11], s[10:11], s[4:5]
	s_mul_i32 s11, s11, 24
	s_mul_hi_u32 s15, s10, 24
	s_mul_i32 s10, s10, 24
	s_add_i32 s11, s15, s11
	v_lshl_add_u64 v[8:9], v[0:1], 0, s[10:11]
	global_store_dwordx2 v[8:9], v[14:15], off
	buffer_wbl2 sc0 sc1
	s_waitcnt vmcnt(0)
	global_atomic_cmpswap_x2 v[2:3], v10, v[12:15], s[26:27] offset:32 sc0 sc1
	s_waitcnt vmcnt(0)
	v_cmp_ne_u64_e32 vcc, v[2:3], v[14:15]
	s_and_saveexec_b64 s[10:11], vcc
	s_cbranch_execz .LBB3_676
; %bb.674:
	s_mov_b64 s[16:17], 0
.LBB3_675:                              ; =>This Inner Loop Header: Depth=1
	s_sleep 1
	global_store_dwordx2 v[8:9], v[2:3], off
	v_mov_b32_e32 v0, s4
	v_mov_b32_e32 v1, s5
	buffer_wbl2 sc0 sc1
	s_waitcnt vmcnt(0)
	global_atomic_cmpswap_x2 v[0:1], v10, v[0:3], s[26:27] offset:32 sc0 sc1
	s_waitcnt vmcnt(0)
	v_cmp_eq_u64_e32 vcc, v[0:1], v[2:3]
	s_or_b64 s[16:17], vcc, s[16:17]
	v_mov_b64_e32 v[2:3], v[0:1]
	s_andn2_b64 exec, exec, s[16:17]
	s_cbranch_execnz .LBB3_675
.LBB3_676:
	s_or_b64 exec, exec, s[10:11]
	v_mov_b32_e32 v3, 0
	global_load_dwordx2 v[0:1], v3, s[26:27] offset:16
	s_mov_b64 s[10:11], exec
	v_mbcnt_lo_u32_b32 v2, s10, 0
	v_mbcnt_hi_u32_b32 v2, s11, v2
	v_cmp_eq_u32_e32 vcc, 0, v2
	s_and_saveexec_b64 s[16:17], vcc
	s_cbranch_execz .LBB3_678
; %bb.677:
	s_bcnt1_i32_b64 s10, s[10:11]
	v_mov_b32_e32 v2, s10
	buffer_wbl2 sc0 sc1
	s_waitcnt vmcnt(0)
	global_atomic_add_x2 v[0:1], v[2:3], off offset:8 sc1
.LBB3_678:
	s_or_b64 exec, exec, s[16:17]
	s_waitcnt vmcnt(0)
	global_load_dwordx2 v[2:3], v[0:1], off offset:16
	s_waitcnt vmcnt(0)
	v_cmp_eq_u64_e32 vcc, 0, v[2:3]
	s_cbranch_vccnz .LBB3_680
; %bb.679:
	global_load_dword v0, v[0:1], off offset:24
	v_mov_b32_e32 v1, 0
	buffer_wbl2 sc0 sc1
	s_waitcnt vmcnt(0)
	global_store_dwordx2 v[2:3], v[0:1], off sc0 sc1
	v_and_b32_e32 v0, 0xffffff, v0
	s_nop 0
	v_readfirstlane_b32 m0, v0
	s_sendmsg sendmsg(MSG_INTERRUPT)
.LBB3_680:
	s_or_b64 exec, exec, s[6:7]
	v_lshl_add_u64 v[0:1], v[6:7], 0, v[48:49]
	s_branch .LBB3_684
.LBB3_681:                              ;   in Loop: Header=BB3_684 Depth=1
	s_or_b64 exec, exec, s[6:7]
	v_readfirstlane_b32 s6, v2
	s_cmp_eq_u32 s6, 0
	s_cbranch_scc1 .LBB3_683
; %bb.682:                              ;   in Loop: Header=BB3_684 Depth=1
	s_sleep 1
	s_cbranch_execnz .LBB3_684
	s_branch .LBB3_686
.LBB3_683:
	s_branch .LBB3_686
.LBB3_684:                              ; =>This Inner Loop Header: Depth=1
	v_mov_b32_e32 v2, 1
	s_and_saveexec_b64 s[6:7], s[0:1]
	s_cbranch_execz .LBB3_681
; %bb.685:                              ;   in Loop: Header=BB3_684 Depth=1
	global_load_dword v2, v[4:5], off offset:20 sc0 sc1
	s_waitcnt vmcnt(0)
	buffer_inv sc0 sc1
	v_and_b32_e32 v2, 1, v2
	s_branch .LBB3_681
.LBB3_686:
	global_load_dwordx2 v[0:1], v[0:1], off
	s_and_saveexec_b64 s[6:7], s[0:1]
	s_cbranch_execz .LBB3_689
; %bb.687:
	v_mov_b32_e32 v8, 0
	global_load_dwordx2 v[6:7], v8, s[26:27] offset:40
	global_load_dwordx2 v[10:11], v8, s[26:27] offset:24 sc0 sc1
	global_load_dwordx2 v[12:13], v8, s[26:27]
	s_mov_b64 s[0:1], 0
	s_waitcnt vmcnt(2)
	v_lshl_add_u64 v[2:3], v[6:7], 0, 1
	v_lshl_add_u64 v[14:15], v[2:3], 0, s[4:5]
	v_cmp_eq_u64_e32 vcc, 0, v[14:15]
	s_waitcnt vmcnt(1)
	v_mov_b32_e32 v4, v10
	v_cndmask_b32_e32 v3, v15, v3, vcc
	v_cndmask_b32_e32 v2, v14, v2, vcc
	v_and_b32_e32 v5, v3, v7
	v_and_b32_e32 v6, v2, v6
	v_mul_lo_u32 v5, v5, 24
	v_mul_hi_u32 v7, v6, 24
	v_mul_lo_u32 v6, v6, 24
	v_add_u32_e32 v7, v7, v5
	s_waitcnt vmcnt(0)
	v_lshl_add_u64 v[6:7], v[12:13], 0, v[6:7]
	global_store_dwordx2 v[6:7], v[10:11], off
	v_mov_b32_e32 v5, v11
	buffer_wbl2 sc0 sc1
	s_waitcnt vmcnt(0)
	global_atomic_cmpswap_x2 v[4:5], v8, v[2:5], s[26:27] offset:24 sc0 sc1
	s_waitcnt vmcnt(0)
	v_cmp_ne_u64_e32 vcc, v[4:5], v[10:11]
	s_and_b64 exec, exec, vcc
	s_cbranch_execz .LBB3_689
.LBB3_688:                              ; =>This Inner Loop Header: Depth=1
	s_sleep 1
	global_store_dwordx2 v[6:7], v[4:5], off
	buffer_wbl2 sc0 sc1
	s_waitcnt vmcnt(0)
	global_atomic_cmpswap_x2 v[10:11], v8, v[2:5], s[26:27] offset:24 sc0 sc1
	s_waitcnt vmcnt(0)
	v_cmp_eq_u64_e32 vcc, v[10:11], v[4:5]
	s_or_b64 s[0:1], vcc, s[0:1]
	v_mov_b64_e32 v[4:5], v[10:11]
	s_andn2_b64 exec, exec, s[0:1]
	s_cbranch_execnz .LBB3_688
.LBB3_689:
	s_or_b64 exec, exec, s[6:7]
	s_and_b64 vcc, exec, s[28:29]
	s_cbranch_vccz .LBB3_774
; %bb.690:
	s_waitcnt vmcnt(0)
	v_and_b32_e32 v28, 2, v0
	v_mov_b32_e32 v31, 0
	v_and_b32_e32 v2, -3, v0
	v_mov_b32_e32 v3, v1
	s_mov_b64 s[6:7], 3
	v_mov_b32_e32 v6, 2
	v_mov_b32_e32 v7, 1
	s_getpc_b64 s[4:5]
	s_add_u32 s4, s4, .str.6@rel32@lo+4
	s_addc_u32 s5, s5, .str.6@rel32@hi+12
	s_branch .LBB3_692
.LBB3_691:                              ;   in Loop: Header=BB3_692 Depth=1
	s_or_b64 exec, exec, s[20:21]
	s_sub_u32 s6, s6, s10
	s_subb_u32 s7, s7, s11
	s_add_u32 s4, s4, s10
	s_addc_u32 s5, s5, s11
	s_cmp_lg_u64 s[6:7], 0
	s_cbranch_scc0 .LBB3_773
.LBB3_692:                              ; =>This Loop Header: Depth=1
                                        ;     Child Loop BB3_695 Depth 2
                                        ;     Child Loop BB3_702 Depth 2
                                        ;     Child Loop BB3_710 Depth 2
                                        ;     Child Loop BB3_718 Depth 2
                                        ;     Child Loop BB3_726 Depth 2
                                        ;     Child Loop BB3_734 Depth 2
                                        ;     Child Loop BB3_742 Depth 2
                                        ;     Child Loop BB3_750 Depth 2
                                        ;     Child Loop BB3_758 Depth 2
                                        ;     Child Loop BB3_767 Depth 2
                                        ;     Child Loop BB3_772 Depth 2
	v_cmp_lt_u64_e64 s[0:1], s[6:7], 56
	s_and_b64 s[0:1], s[0:1], exec
	v_cmp_gt_u64_e64 s[0:1], s[6:7], 7
	s_cselect_b32 s11, s7, 0
	s_cselect_b32 s10, s6, 56
	s_and_b64 vcc, exec, s[0:1]
	s_cbranch_vccnz .LBB3_697
; %bb.693:                              ;   in Loop: Header=BB3_692 Depth=1
	s_mov_b64 s[0:1], 0
	s_cmp_eq_u64 s[6:7], 0
	v_mov_b64_e32 v[10:11], 0
	s_cbranch_scc1 .LBB3_696
; %bb.694:                              ;   in Loop: Header=BB3_692 Depth=1
	s_lshl_b64 s[16:17], s[10:11], 3
	s_mov_b64 s[20:21], 0
	v_mov_b64_e32 v[10:11], 0
	s_mov_b64 vcc, s[4:5]
.LBB3_695:                              ;   Parent Loop BB3_692 Depth=1
                                        ; =>  This Inner Loop Header: Depth=2
	global_load_ubyte v4, v31, vcc
	s_waitcnt vmcnt(0)
	v_and_b32_e32 v30, 0xffff, v4
	v_lshlrev_b64 v[4:5], s20, v[30:31]
	s_add_u32 s20, s20, 8
	s_addc_u32 s21, s21, 0
	s_add_u32 vcc_lo, vcc_lo, 1
	s_addc_u32 vcc_hi, vcc_hi, 0
	v_or_b32_e32 v10, v4, v10
	s_cmp_lg_u32 s16, s20
	v_or_b32_e32 v11, v5, v11
	s_cbranch_scc1 .LBB3_695
.LBB3_696:                              ;   in Loop: Header=BB3_692 Depth=1
	s_mov_b32 s15, 0
	s_andn2_b64 vcc, exec, s[0:1]
	s_mov_b64 s[0:1], s[4:5]
	s_cbranch_vccz .LBB3_698
	s_branch .LBB3_699
.LBB3_697:                              ;   in Loop: Header=BB3_692 Depth=1
                                        ; implicit-def: $vgpr10_vgpr11
                                        ; implicit-def: $sgpr15
	s_mov_b64 s[0:1], s[4:5]
.LBB3_698:                              ;   in Loop: Header=BB3_692 Depth=1
	global_load_dwordx2 v[10:11], v31, s[4:5]
	s_add_i32 s15, s10, -8
	s_add_u32 s0, s4, 8
	s_addc_u32 s1, s5, 0
.LBB3_699:                              ;   in Loop: Header=BB3_692 Depth=1
	s_cmp_gt_u32 s15, 7
	s_cbranch_scc1 .LBB3_703
; %bb.700:                              ;   in Loop: Header=BB3_692 Depth=1
	s_cmp_eq_u32 s15, 0
	s_cbranch_scc1 .LBB3_704
; %bb.701:                              ;   in Loop: Header=BB3_692 Depth=1
	s_mov_b64 s[16:17], 0
	v_mov_b64_e32 v[12:13], 0
	s_mov_b64 s[20:21], 0
.LBB3_702:                              ;   Parent Loop BB3_692 Depth=1
                                        ; =>  This Inner Loop Header: Depth=2
	s_add_u32 vcc_lo, s0, s20
	s_addc_u32 vcc_hi, s1, s21
	global_load_ubyte v4, v31, vcc
	s_add_u32 s20, s20, 1
	s_addc_u32 s21, s21, 0
	s_waitcnt vmcnt(0)
	v_and_b32_e32 v30, 0xffff, v4
	v_lshlrev_b64 v[4:5], s16, v[30:31]
	s_add_u32 s16, s16, 8
	s_addc_u32 s17, s17, 0
	v_or_b32_e32 v12, v4, v12
	s_cmp_lg_u32 s15, s20
	v_or_b32_e32 v13, v5, v13
	s_cbranch_scc1 .LBB3_702
	s_branch .LBB3_705
.LBB3_703:                              ;   in Loop: Header=BB3_692 Depth=1
                                        ; implicit-def: $vgpr12_vgpr13
                                        ; implicit-def: $sgpr30
	s_branch .LBB3_706
.LBB3_704:                              ;   in Loop: Header=BB3_692 Depth=1
	v_mov_b64_e32 v[12:13], 0
.LBB3_705:                              ;   in Loop: Header=BB3_692 Depth=1
	s_mov_b32 s30, 0
	s_cbranch_execnz .LBB3_707
.LBB3_706:                              ;   in Loop: Header=BB3_692 Depth=1
	global_load_dwordx2 v[12:13], v31, s[0:1]
	s_add_i32 s30, s15, -8
	s_add_u32 s0, s0, 8
	s_addc_u32 s1, s1, 0
.LBB3_707:                              ;   in Loop: Header=BB3_692 Depth=1
	s_cmp_gt_u32 s30, 7
	s_cbranch_scc1 .LBB3_711
; %bb.708:                              ;   in Loop: Header=BB3_692 Depth=1
	s_cmp_eq_u32 s30, 0
	s_cbranch_scc1 .LBB3_712
; %bb.709:                              ;   in Loop: Header=BB3_692 Depth=1
	s_mov_b64 s[16:17], 0
	v_mov_b64_e32 v[14:15], 0
	s_mov_b64 s[20:21], 0
.LBB3_710:                              ;   Parent Loop BB3_692 Depth=1
                                        ; =>  This Inner Loop Header: Depth=2
	s_add_u32 vcc_lo, s0, s20
	s_addc_u32 vcc_hi, s1, s21
	global_load_ubyte v4, v31, vcc
	s_add_u32 s20, s20, 1
	s_addc_u32 s21, s21, 0
	s_waitcnt vmcnt(0)
	v_and_b32_e32 v30, 0xffff, v4
	v_lshlrev_b64 v[4:5], s16, v[30:31]
	s_add_u32 s16, s16, 8
	s_addc_u32 s17, s17, 0
	v_or_b32_e32 v14, v4, v14
	s_cmp_lg_u32 s30, s20
	v_or_b32_e32 v15, v5, v15
	s_cbranch_scc1 .LBB3_710
	s_branch .LBB3_713
.LBB3_711:                              ;   in Loop: Header=BB3_692 Depth=1
                                        ; implicit-def: $sgpr15
	s_branch .LBB3_714
.LBB3_712:                              ;   in Loop: Header=BB3_692 Depth=1
	v_mov_b64_e32 v[14:15], 0
.LBB3_713:                              ;   in Loop: Header=BB3_692 Depth=1
	s_mov_b32 s15, 0
	s_cbranch_execnz .LBB3_715
.LBB3_714:                              ;   in Loop: Header=BB3_692 Depth=1
	global_load_dwordx2 v[14:15], v31, s[0:1]
	s_add_i32 s15, s30, -8
	s_add_u32 s0, s0, 8
	s_addc_u32 s1, s1, 0
.LBB3_715:                              ;   in Loop: Header=BB3_692 Depth=1
	s_cmp_gt_u32 s15, 7
	s_cbranch_scc1 .LBB3_719
; %bb.716:                              ;   in Loop: Header=BB3_692 Depth=1
	s_cmp_eq_u32 s15, 0
	s_cbranch_scc1 .LBB3_720
; %bb.717:                              ;   in Loop: Header=BB3_692 Depth=1
	s_mov_b64 s[16:17], 0
	v_mov_b64_e32 v[16:17], 0
	s_mov_b64 s[20:21], 0
.LBB3_718:                              ;   Parent Loop BB3_692 Depth=1
                                        ; =>  This Inner Loop Header: Depth=2
	s_add_u32 vcc_lo, s0, s20
	s_addc_u32 vcc_hi, s1, s21
	global_load_ubyte v4, v31, vcc
	s_add_u32 s20, s20, 1
	s_addc_u32 s21, s21, 0
	s_waitcnt vmcnt(0)
	v_and_b32_e32 v30, 0xffff, v4
	v_lshlrev_b64 v[4:5], s16, v[30:31]
	s_add_u32 s16, s16, 8
	s_addc_u32 s17, s17, 0
	v_or_b32_e32 v16, v4, v16
	s_cmp_lg_u32 s15, s20
	v_or_b32_e32 v17, v5, v17
	s_cbranch_scc1 .LBB3_718
	s_branch .LBB3_721
.LBB3_719:                              ;   in Loop: Header=BB3_692 Depth=1
                                        ; implicit-def: $vgpr16_vgpr17
                                        ; implicit-def: $sgpr30
	s_branch .LBB3_722
.LBB3_720:                              ;   in Loop: Header=BB3_692 Depth=1
	v_mov_b64_e32 v[16:17], 0
.LBB3_721:                              ;   in Loop: Header=BB3_692 Depth=1
	s_mov_b32 s30, 0
	s_cbranch_execnz .LBB3_723
.LBB3_722:                              ;   in Loop: Header=BB3_692 Depth=1
	global_load_dwordx2 v[16:17], v31, s[0:1]
	s_add_i32 s30, s15, -8
	s_add_u32 s0, s0, 8
	s_addc_u32 s1, s1, 0
.LBB3_723:                              ;   in Loop: Header=BB3_692 Depth=1
	s_cmp_gt_u32 s30, 7
	s_cbranch_scc1 .LBB3_727
; %bb.724:                              ;   in Loop: Header=BB3_692 Depth=1
	s_cmp_eq_u32 s30, 0
	s_cbranch_scc1 .LBB3_728
; %bb.725:                              ;   in Loop: Header=BB3_692 Depth=1
	s_mov_b64 s[16:17], 0
	v_mov_b64_e32 v[18:19], 0
	s_mov_b64 s[20:21], 0
.LBB3_726:                              ;   Parent Loop BB3_692 Depth=1
                                        ; =>  This Inner Loop Header: Depth=2
	s_add_u32 vcc_lo, s0, s20
	s_addc_u32 vcc_hi, s1, s21
	global_load_ubyte v4, v31, vcc
	s_add_u32 s20, s20, 1
	s_addc_u32 s21, s21, 0
	s_waitcnt vmcnt(0)
	v_and_b32_e32 v30, 0xffff, v4
	v_lshlrev_b64 v[4:5], s16, v[30:31]
	s_add_u32 s16, s16, 8
	s_addc_u32 s17, s17, 0
	v_or_b32_e32 v18, v4, v18
	s_cmp_lg_u32 s30, s20
	v_or_b32_e32 v19, v5, v19
	s_cbranch_scc1 .LBB3_726
	s_branch .LBB3_729
.LBB3_727:                              ;   in Loop: Header=BB3_692 Depth=1
                                        ; implicit-def: $sgpr15
	s_branch .LBB3_730
.LBB3_728:                              ;   in Loop: Header=BB3_692 Depth=1
	v_mov_b64_e32 v[18:19], 0
.LBB3_729:                              ;   in Loop: Header=BB3_692 Depth=1
	s_mov_b32 s15, 0
	s_cbranch_execnz .LBB3_731
.LBB3_730:                              ;   in Loop: Header=BB3_692 Depth=1
	global_load_dwordx2 v[18:19], v31, s[0:1]
	s_add_i32 s15, s30, -8
	s_add_u32 s0, s0, 8
	s_addc_u32 s1, s1, 0
.LBB3_731:                              ;   in Loop: Header=BB3_692 Depth=1
	s_cmp_gt_u32 s15, 7
	s_cbranch_scc1 .LBB3_735
; %bb.732:                              ;   in Loop: Header=BB3_692 Depth=1
	s_cmp_eq_u32 s15, 0
	s_cbranch_scc1 .LBB3_736
; %bb.733:                              ;   in Loop: Header=BB3_692 Depth=1
	s_mov_b64 s[16:17], 0
	v_mov_b64_e32 v[20:21], 0
	s_mov_b64 s[20:21], 0
.LBB3_734:                              ;   Parent Loop BB3_692 Depth=1
                                        ; =>  This Inner Loop Header: Depth=2
	s_add_u32 vcc_lo, s0, s20
	s_addc_u32 vcc_hi, s1, s21
	global_load_ubyte v4, v31, vcc
	s_add_u32 s20, s20, 1
	s_addc_u32 s21, s21, 0
	s_waitcnt vmcnt(0)
	v_and_b32_e32 v30, 0xffff, v4
	v_lshlrev_b64 v[4:5], s16, v[30:31]
	s_add_u32 s16, s16, 8
	s_addc_u32 s17, s17, 0
	v_or_b32_e32 v20, v4, v20
	s_cmp_lg_u32 s15, s20
	v_or_b32_e32 v21, v5, v21
	s_cbranch_scc1 .LBB3_734
	s_branch .LBB3_737
.LBB3_735:                              ;   in Loop: Header=BB3_692 Depth=1
                                        ; implicit-def: $vgpr20_vgpr21
                                        ; implicit-def: $sgpr30
	s_branch .LBB3_738
.LBB3_736:                              ;   in Loop: Header=BB3_692 Depth=1
	v_mov_b64_e32 v[20:21], 0
.LBB3_737:                              ;   in Loop: Header=BB3_692 Depth=1
	s_mov_b32 s30, 0
	s_cbranch_execnz .LBB3_739
.LBB3_738:                              ;   in Loop: Header=BB3_692 Depth=1
	global_load_dwordx2 v[20:21], v31, s[0:1]
	s_add_i32 s30, s15, -8
	s_add_u32 s0, s0, 8
	s_addc_u32 s1, s1, 0
.LBB3_739:                              ;   in Loop: Header=BB3_692 Depth=1
	s_cmp_gt_u32 s30, 7
	s_cbranch_scc1 .LBB3_743
; %bb.740:                              ;   in Loop: Header=BB3_692 Depth=1
	s_cmp_eq_u32 s30, 0
	s_cbranch_scc1 .LBB3_744
; %bb.741:                              ;   in Loop: Header=BB3_692 Depth=1
	s_mov_b64 s[16:17], 0
	v_mov_b64_e32 v[22:23], 0
	s_mov_b64 s[20:21], s[0:1]
.LBB3_742:                              ;   Parent Loop BB3_692 Depth=1
                                        ; =>  This Inner Loop Header: Depth=2
	global_load_ubyte v4, v31, s[20:21]
	s_add_i32 s30, s30, -1
	s_waitcnt vmcnt(0)
	v_and_b32_e32 v30, 0xffff, v4
	v_lshlrev_b64 v[4:5], s16, v[30:31]
	s_add_u32 s16, s16, 8
	s_addc_u32 s17, s17, 0
	s_add_u32 s20, s20, 1
	s_addc_u32 s21, s21, 0
	v_or_b32_e32 v22, v4, v22
	s_cmp_lg_u32 s30, 0
	v_or_b32_e32 v23, v5, v23
	s_cbranch_scc1 .LBB3_742
	s_branch .LBB3_745
.LBB3_743:                              ;   in Loop: Header=BB3_692 Depth=1
	s_branch .LBB3_746
.LBB3_744:                              ;   in Loop: Header=BB3_692 Depth=1
	v_mov_b64_e32 v[22:23], 0
.LBB3_745:                              ;   in Loop: Header=BB3_692 Depth=1
	s_cbranch_execnz .LBB3_747
.LBB3_746:                              ;   in Loop: Header=BB3_692 Depth=1
	global_load_dwordx2 v[22:23], v31, s[0:1]
.LBB3_747:                              ;   in Loop: Header=BB3_692 Depth=1
	v_readfirstlane_b32 s0, v37
	s_waitcnt vmcnt(0)
	v_mov_b64_e32 v[4:5], 0
	v_cmp_eq_u32_e64 s[0:1], s0, v37
	s_and_saveexec_b64 s[16:17], s[0:1]
	s_cbranch_execz .LBB3_753
; %bb.748:                              ;   in Loop: Header=BB3_692 Depth=1
	global_load_dwordx2 v[26:27], v31, s[26:27] offset:24 sc0 sc1
	s_waitcnt vmcnt(0)
	buffer_inv sc0 sc1
	global_load_dwordx2 v[4:5], v31, s[26:27] offset:40
	global_load_dwordx2 v[8:9], v31, s[26:27]
	s_waitcnt vmcnt(1)
	v_and_b32_e32 v4, v4, v26
	v_and_b32_e32 v5, v5, v27
	v_mul_lo_u32 v5, v5, 24
	v_mul_hi_u32 v24, v4, 24
	v_add_u32_e32 v5, v24, v5
	v_mul_lo_u32 v4, v4, 24
	s_waitcnt vmcnt(0)
	v_lshl_add_u64 v[4:5], v[8:9], 0, v[4:5]
	global_load_dwordx2 v[24:25], v[4:5], off sc0 sc1
	s_waitcnt vmcnt(0)
	global_atomic_cmpswap_x2 v[4:5], v31, v[24:27], s[26:27] offset:24 sc0 sc1
	s_waitcnt vmcnt(0)
	buffer_inv sc0 sc1
	v_cmp_ne_u64_e32 vcc, v[4:5], v[26:27]
	s_and_saveexec_b64 s[20:21], vcc
	s_cbranch_execz .LBB3_752
; %bb.749:                              ;   in Loop: Header=BB3_692 Depth=1
	s_mov_b64 s[30:31], 0
.LBB3_750:                              ;   Parent Loop BB3_692 Depth=1
                                        ; =>  This Inner Loop Header: Depth=2
	s_sleep 1
	global_load_dwordx2 v[8:9], v31, s[26:27] offset:40
	global_load_dwordx2 v[24:25], v31, s[26:27]
	v_mov_b64_e32 v[26:27], v[4:5]
	s_waitcnt vmcnt(1)
	v_and_b32_e32 v4, v8, v26
	s_waitcnt vmcnt(0)
	v_mad_u64_u32 v[4:5], vcc, v4, 24, v[24:25]
	v_and_b32_e32 v9, v9, v27
	v_mov_b32_e32 v8, v5
	v_mad_u64_u32 v[8:9], vcc, v9, 24, v[8:9]
	v_mov_b32_e32 v5, v8
	global_load_dwordx2 v[24:25], v[4:5], off sc0 sc1
	s_waitcnt vmcnt(0)
	global_atomic_cmpswap_x2 v[4:5], v31, v[24:27], s[26:27] offset:24 sc0 sc1
	s_waitcnt vmcnt(0)
	buffer_inv sc0 sc1
	v_cmp_eq_u64_e32 vcc, v[4:5], v[26:27]
	s_or_b64 s[30:31], vcc, s[30:31]
	s_andn2_b64 exec, exec, s[30:31]
	s_cbranch_execnz .LBB3_750
; %bb.751:                              ;   in Loop: Header=BB3_692 Depth=1
	s_or_b64 exec, exec, s[30:31]
.LBB3_752:                              ;   in Loop: Header=BB3_692 Depth=1
	s_or_b64 exec, exec, s[20:21]
.LBB3_753:                              ;   in Loop: Header=BB3_692 Depth=1
	s_or_b64 exec, exec, s[16:17]
	global_load_dwordx2 v[8:9], v31, s[26:27] offset:40
	global_load_dwordx4 v[24:27], v31, s[26:27]
	v_readfirstlane_b32 s16, v4
	v_readfirstlane_b32 s17, v5
	s_mov_b64 s[20:21], exec
	s_waitcnt vmcnt(1)
	v_readfirstlane_b32 vcc_lo, v8
	v_readfirstlane_b32 vcc_hi, v9
	s_and_b64 vcc, s[16:17], vcc
	s_mul_i32 s15, vcc_hi, 24
	s_mul_hi_u32 s30, vcc_lo, 24
	s_add_i32 s31, s30, s15
	s_mul_i32 s30, vcc_lo, 24
	s_waitcnt vmcnt(0)
	v_lshl_add_u64 v[32:33], v[24:25], 0, s[30:31]
	s_and_saveexec_b64 s[30:31], s[0:1]
	s_cbranch_execz .LBB3_755
; %bb.754:                              ;   in Loop: Header=BB3_692 Depth=1
	v_mov_b64_e32 v[4:5], s[20:21]
	global_store_dwordx4 v[32:33], v[4:7], off offset:8
.LBB3_755:                              ;   in Loop: Header=BB3_692 Depth=1
	s_or_b64 exec, exec, s[30:31]
	s_lshl_b64 s[20:21], vcc, 12
	v_or_b32_e32 v5, v2, v28
	v_cmp_gt_u64_e64 vcc, s[6:7], 56
	s_lshl_b32 s15, s10, 2
	s_add_i32 s15, s15, 28
	v_cndmask_b32_e32 v2, v5, v2, vcc
	v_lshl_add_u64 v[26:27], v[26:27], 0, s[20:21]
	v_or_b32_e32 v4, 0, v3
	s_and_b32 s15, s15, 0x1e0
	v_and_b32_e32 v2, 0xffffff1f, v2
	v_cndmask_b32_e32 v9, v4, v3, vcc
	v_or_b32_e32 v8, s15, v2
	v_readfirstlane_b32 s20, v26
	v_readfirstlane_b32 s21, v27
	s_nop 4
	global_store_dwordx4 v48, v[8:11], s[20:21]
	global_store_dwordx4 v48, v[12:15], s[20:21] offset:16
	global_store_dwordx4 v48, v[16:19], s[20:21] offset:32
	;; [unrolled: 1-line block ×3, first 2 shown]
	s_and_saveexec_b64 s[20:21], s[0:1]
	s_cbranch_execz .LBB3_763
; %bb.756:                              ;   in Loop: Header=BB3_692 Depth=1
	global_load_dwordx2 v[12:13], v31, s[26:27] offset:32 sc0 sc1
	global_load_dwordx2 v[2:3], v31, s[26:27] offset:40
	v_mov_b32_e32 v10, s16
	v_mov_b32_e32 v11, s17
	s_waitcnt vmcnt(0)
	v_readfirstlane_b32 vcc_lo, v2
	v_readfirstlane_b32 vcc_hi, v3
	s_and_b64 vcc, vcc, s[16:17]
	s_mul_i32 s15, vcc_hi, 24
	s_mul_hi_u32 vcc_hi, vcc_lo, 24
	s_mul_i32 vcc_lo, vcc_lo, 24
	s_add_i32 vcc_hi, vcc_hi, s15
	v_lshl_add_u64 v[8:9], v[24:25], 0, vcc
	global_store_dwordx2 v[8:9], v[12:13], off
	buffer_wbl2 sc0 sc1
	s_waitcnt vmcnt(0)
	global_atomic_cmpswap_x2 v[4:5], v31, v[10:13], s[26:27] offset:32 sc0 sc1
	s_waitcnt vmcnt(0)
	v_cmp_ne_u64_e32 vcc, v[4:5], v[12:13]
	s_and_saveexec_b64 s[30:31], vcc
	s_cbranch_execz .LBB3_759
; %bb.757:                              ;   in Loop: Header=BB3_692 Depth=1
	s_mov_b64 s[34:35], 0
.LBB3_758:                              ;   Parent Loop BB3_692 Depth=1
                                        ; =>  This Inner Loop Header: Depth=2
	s_sleep 1
	global_store_dwordx2 v[8:9], v[4:5], off
	v_mov_b32_e32 v2, s16
	v_mov_b32_e32 v3, s17
	buffer_wbl2 sc0 sc1
	s_waitcnt vmcnt(0)
	global_atomic_cmpswap_x2 v[2:3], v31, v[2:5], s[26:27] offset:32 sc0 sc1
	s_waitcnt vmcnt(0)
	v_cmp_eq_u64_e32 vcc, v[2:3], v[4:5]
	s_or_b64 s[34:35], vcc, s[34:35]
	v_mov_b64_e32 v[4:5], v[2:3]
	s_andn2_b64 exec, exec, s[34:35]
	s_cbranch_execnz .LBB3_758
.LBB3_759:                              ;   in Loop: Header=BB3_692 Depth=1
	s_or_b64 exec, exec, s[30:31]
	global_load_dwordx2 v[2:3], v31, s[26:27] offset:16
	s_mov_b64 s[34:35], exec
	v_mbcnt_lo_u32_b32 v4, s34, 0
	v_mbcnt_hi_u32_b32 v4, s35, v4
	v_cmp_eq_u32_e32 vcc, 0, v4
	s_and_saveexec_b64 s[30:31], vcc
	s_cbranch_execz .LBB3_761
; %bb.760:                              ;   in Loop: Header=BB3_692 Depth=1
	s_bcnt1_i32_b64 s15, s[34:35]
	v_mov_b32_e32 v30, s15
	buffer_wbl2 sc0 sc1
	s_waitcnt vmcnt(0)
	global_atomic_add_x2 v[2:3], v[30:31], off offset:8 sc1
.LBB3_761:                              ;   in Loop: Header=BB3_692 Depth=1
	s_or_b64 exec, exec, s[30:31]
	s_waitcnt vmcnt(0)
	global_load_dwordx2 v[4:5], v[2:3], off offset:16
	s_waitcnt vmcnt(0)
	v_cmp_eq_u64_e32 vcc, 0, v[4:5]
	s_cbranch_vccnz .LBB3_763
; %bb.762:                              ;   in Loop: Header=BB3_692 Depth=1
	global_load_dword v30, v[2:3], off offset:24
	s_waitcnt vmcnt(0)
	v_and_b32_e32 v2, 0xffffff, v30
	s_nop 0
	v_readfirstlane_b32 m0, v2
	buffer_wbl2 sc0 sc1
	global_store_dwordx2 v[4:5], v[30:31], off sc0 sc1
	s_sendmsg sendmsg(MSG_INTERRUPT)
.LBB3_763:                              ;   in Loop: Header=BB3_692 Depth=1
	s_or_b64 exec, exec, s[20:21]
	v_mov_b32_e32 v49, v31
	v_lshl_add_u64 v[2:3], v[26:27], 0, v[48:49]
	s_branch .LBB3_767
.LBB3_764:                              ;   in Loop: Header=BB3_767 Depth=2
	s_or_b64 exec, exec, s[20:21]
	v_readfirstlane_b32 s15, v4
	s_cmp_eq_u32 s15, 0
	s_cbranch_scc1 .LBB3_766
; %bb.765:                              ;   in Loop: Header=BB3_767 Depth=2
	s_sleep 1
	s_cbranch_execnz .LBB3_767
	s_branch .LBB3_769
.LBB3_766:                              ;   in Loop: Header=BB3_692 Depth=1
	s_branch .LBB3_769
.LBB3_767:                              ;   Parent Loop BB3_692 Depth=1
                                        ; =>  This Inner Loop Header: Depth=2
	v_mov_b32_e32 v4, 1
	s_and_saveexec_b64 s[20:21], s[0:1]
	s_cbranch_execz .LBB3_764
; %bb.768:                              ;   in Loop: Header=BB3_767 Depth=2
	global_load_dword v4, v[32:33], off offset:20 sc0 sc1
	s_waitcnt vmcnt(0)
	buffer_inv sc0 sc1
	v_and_b32_e32 v4, 1, v4
	s_branch .LBB3_764
.LBB3_769:                              ;   in Loop: Header=BB3_692 Depth=1
	global_load_dwordx4 v[2:5], v[2:3], off
	s_and_saveexec_b64 s[20:21], s[0:1]
	s_cbranch_execz .LBB3_691
; %bb.770:                              ;   in Loop: Header=BB3_692 Depth=1
	global_load_dwordx2 v[4:5], v31, s[26:27] offset:40
	global_load_dwordx2 v[12:13], v31, s[26:27] offset:24 sc0 sc1
	global_load_dwordx2 v[14:15], v31, s[26:27]
	s_waitcnt vmcnt(2)
	v_lshl_add_u64 v[8:9], v[4:5], 0, 1
	v_lshl_add_u64 v[16:17], v[8:9], 0, s[16:17]
	v_cmp_eq_u64_e32 vcc, 0, v[16:17]
	s_waitcnt vmcnt(1)
	v_mov_b32_e32 v10, v12
	v_cndmask_b32_e32 v9, v17, v9, vcc
	v_cndmask_b32_e32 v8, v16, v8, vcc
	v_and_b32_e32 v5, v9, v5
	v_and_b32_e32 v4, v8, v4
	v_mul_lo_u32 v5, v5, 24
	v_mul_hi_u32 v11, v4, 24
	v_mul_lo_u32 v4, v4, 24
	v_add_u32_e32 v5, v11, v5
	s_waitcnt vmcnt(0)
	v_lshl_add_u64 v[4:5], v[14:15], 0, v[4:5]
	global_store_dwordx2 v[4:5], v[12:13], off
	v_mov_b32_e32 v11, v13
	buffer_wbl2 sc0 sc1
	s_waitcnt vmcnt(0)
	global_atomic_cmpswap_x2 v[10:11], v31, v[8:11], s[26:27] offset:24 sc0 sc1
	s_waitcnt vmcnt(0)
	v_cmp_ne_u64_e32 vcc, v[10:11], v[12:13]
	s_and_b64 exec, exec, vcc
	s_cbranch_execz .LBB3_691
; %bb.771:                              ;   in Loop: Header=BB3_692 Depth=1
	s_mov_b64 s[0:1], 0
.LBB3_772:                              ;   Parent Loop BB3_692 Depth=1
                                        ; =>  This Inner Loop Header: Depth=2
	s_sleep 1
	global_store_dwordx2 v[4:5], v[10:11], off
	buffer_wbl2 sc0 sc1
	s_waitcnt vmcnt(0)
	global_atomic_cmpswap_x2 v[12:13], v31, v[8:11], s[26:27] offset:24 sc0 sc1
	s_waitcnt vmcnt(0)
	v_cmp_eq_u64_e32 vcc, v[12:13], v[10:11]
	s_or_b64 s[0:1], vcc, s[0:1]
	v_mov_b64_e32 v[10:11], v[12:13]
	s_andn2_b64 exec, exec, s[0:1]
	s_cbranch_execnz .LBB3_772
	s_branch .LBB3_691
.LBB3_773:
	s_branch .LBB3_801
.LBB3_774:
                                        ; implicit-def: $vgpr2_vgpr3
	s_cbranch_execz .LBB3_801
; %bb.775:
	v_readfirstlane_b32 s0, v37
	s_waitcnt vmcnt(0)
	v_mov_b64_e32 v[2:3], 0
	v_cmp_eq_u32_e64 s[0:1], s0, v37
	s_and_saveexec_b64 s[4:5], s[0:1]
	s_cbranch_execz .LBB3_781
; %bb.776:
	v_mov_b32_e32 v4, 0
	global_load_dwordx2 v[8:9], v4, s[26:27] offset:24 sc0 sc1
	s_waitcnt vmcnt(0)
	buffer_inv sc0 sc1
	global_load_dwordx2 v[2:3], v4, s[26:27] offset:40
	global_load_dwordx2 v[6:7], v4, s[26:27]
	s_waitcnt vmcnt(1)
	v_and_b32_e32 v2, v2, v8
	v_and_b32_e32 v3, v3, v9
	v_mul_lo_u32 v3, v3, 24
	v_mul_hi_u32 v5, v2, 24
	v_add_u32_e32 v3, v5, v3
	v_mul_lo_u32 v2, v2, 24
	s_waitcnt vmcnt(0)
	v_lshl_add_u64 v[2:3], v[6:7], 0, v[2:3]
	global_load_dwordx2 v[6:7], v[2:3], off sc0 sc1
	s_waitcnt vmcnt(0)
	global_atomic_cmpswap_x2 v[2:3], v4, v[6:9], s[26:27] offset:24 sc0 sc1
	s_waitcnt vmcnt(0)
	buffer_inv sc0 sc1
	v_cmp_ne_u64_e32 vcc, v[2:3], v[8:9]
	s_and_saveexec_b64 s[6:7], vcc
	s_cbranch_execz .LBB3_780
; %bb.777:
	s_mov_b64 s[10:11], 0
.LBB3_778:                              ; =>This Inner Loop Header: Depth=1
	s_sleep 1
	global_load_dwordx2 v[6:7], v4, s[26:27] offset:40
	global_load_dwordx2 v[10:11], v4, s[26:27]
	v_mov_b64_e32 v[8:9], v[2:3]
	s_waitcnt vmcnt(1)
	v_and_b32_e32 v2, v6, v8
	s_waitcnt vmcnt(0)
	v_mad_u64_u32 v[2:3], s[16:17], v2, 24, v[10:11]
	v_and_b32_e32 v5, v7, v9
	v_mov_b32_e32 v6, v3
	v_mad_u64_u32 v[6:7], s[16:17], v5, 24, v[6:7]
	v_mov_b32_e32 v3, v6
	global_load_dwordx2 v[6:7], v[2:3], off sc0 sc1
	s_waitcnt vmcnt(0)
	global_atomic_cmpswap_x2 v[2:3], v4, v[6:9], s[26:27] offset:24 sc0 sc1
	s_waitcnt vmcnt(0)
	buffer_inv sc0 sc1
	v_cmp_eq_u64_e32 vcc, v[2:3], v[8:9]
	s_or_b64 s[10:11], vcc, s[10:11]
	s_andn2_b64 exec, exec, s[10:11]
	s_cbranch_execnz .LBB3_778
; %bb.779:
	s_or_b64 exec, exec, s[10:11]
.LBB3_780:
	s_or_b64 exec, exec, s[6:7]
.LBB3_781:
	s_or_b64 exec, exec, s[4:5]
	v_mov_b32_e32 v49, 0
	global_load_dwordx2 v[8:9], v49, s[26:27] offset:40
	global_load_dwordx4 v[4:7], v49, s[26:27]
	v_readfirstlane_b32 s4, v2
	v_readfirstlane_b32 s5, v3
	s_mov_b64 s[6:7], exec
	s_waitcnt vmcnt(1)
	v_readfirstlane_b32 s10, v8
	v_readfirstlane_b32 s11, v9
	s_and_b64 s[10:11], s[4:5], s[10:11]
	s_mul_i32 s15, s11, 24
	s_mul_hi_u32 s16, s10, 24
	s_add_i32 s17, s16, s15
	s_mul_i32 s16, s10, 24
	s_waitcnt vmcnt(0)
	v_lshl_add_u64 v[8:9], v[4:5], 0, s[16:17]
	s_and_saveexec_b64 s[16:17], s[0:1]
	s_cbranch_execz .LBB3_783
; %bb.782:
	v_mov_b64_e32 v[10:11], s[6:7]
	v_mov_b32_e32 v12, 2
	v_mov_b32_e32 v13, 1
	global_store_dwordx4 v[8:9], v[10:13], off offset:8
.LBB3_783:
	s_or_b64 exec, exec, s[16:17]
	s_lshl_b64 s[6:7], s[10:11], 12
	v_lshl_add_u64 v[6:7], v[6:7], 0, s[6:7]
	s_movk_i32 s6, 0xff1f
	s_mov_b32 s36, 0
	v_and_or_b32 v0, v0, s6, 32
	v_mov_b32_e32 v2, v49
	v_mov_b32_e32 v3, v49
	v_readfirstlane_b32 s6, v6
	v_readfirstlane_b32 s7, v7
	s_mov_b32 s37, s36
	s_mov_b32 s38, s36
	;; [unrolled: 1-line block ×3, first 2 shown]
	s_nop 1
	global_store_dwordx4 v48, v[0:3], s[6:7]
	s_nop 1
	v_mov_b64_e32 v[0:1], s[36:37]
	v_mov_b64_e32 v[2:3], s[38:39]
	global_store_dwordx4 v48, v[0:3], s[6:7] offset:16
	global_store_dwordx4 v48, v[0:3], s[6:7] offset:32
	;; [unrolled: 1-line block ×3, first 2 shown]
	s_and_saveexec_b64 s[6:7], s[0:1]
	s_cbranch_execz .LBB3_791
; %bb.784:
	v_mov_b32_e32 v10, 0
	global_load_dwordx2 v[14:15], v10, s[26:27] offset:32 sc0 sc1
	global_load_dwordx2 v[0:1], v10, s[26:27] offset:40
	v_mov_b32_e32 v12, s4
	v_mov_b32_e32 v13, s5
	s_waitcnt vmcnt(0)
	v_readfirstlane_b32 s10, v0
	v_readfirstlane_b32 s11, v1
	s_and_b64 s[10:11], s[10:11], s[4:5]
	s_mul_i32 s11, s11, 24
	s_mul_hi_u32 s15, s10, 24
	s_mul_i32 s10, s10, 24
	s_add_i32 s11, s15, s11
	v_lshl_add_u64 v[4:5], v[4:5], 0, s[10:11]
	global_store_dwordx2 v[4:5], v[14:15], off
	buffer_wbl2 sc0 sc1
	s_waitcnt vmcnt(0)
	global_atomic_cmpswap_x2 v[2:3], v10, v[12:15], s[26:27] offset:32 sc0 sc1
	s_waitcnt vmcnt(0)
	v_cmp_ne_u64_e32 vcc, v[2:3], v[14:15]
	s_and_saveexec_b64 s[10:11], vcc
	s_cbranch_execz .LBB3_787
; %bb.785:
	s_mov_b64 s[16:17], 0
.LBB3_786:                              ; =>This Inner Loop Header: Depth=1
	s_sleep 1
	global_store_dwordx2 v[4:5], v[2:3], off
	v_mov_b32_e32 v0, s4
	v_mov_b32_e32 v1, s5
	buffer_wbl2 sc0 sc1
	s_waitcnt vmcnt(0)
	global_atomic_cmpswap_x2 v[0:1], v10, v[0:3], s[26:27] offset:32 sc0 sc1
	s_waitcnt vmcnt(0)
	v_cmp_eq_u64_e32 vcc, v[0:1], v[2:3]
	s_or_b64 s[16:17], vcc, s[16:17]
	v_mov_b64_e32 v[2:3], v[0:1]
	s_andn2_b64 exec, exec, s[16:17]
	s_cbranch_execnz .LBB3_786
.LBB3_787:
	s_or_b64 exec, exec, s[10:11]
	v_mov_b32_e32 v3, 0
	global_load_dwordx2 v[0:1], v3, s[26:27] offset:16
	s_mov_b64 s[10:11], exec
	v_mbcnt_lo_u32_b32 v2, s10, 0
	v_mbcnt_hi_u32_b32 v2, s11, v2
	v_cmp_eq_u32_e32 vcc, 0, v2
	s_and_saveexec_b64 s[16:17], vcc
	s_cbranch_execz .LBB3_789
; %bb.788:
	s_bcnt1_i32_b64 s10, s[10:11]
	v_mov_b32_e32 v2, s10
	buffer_wbl2 sc0 sc1
	s_waitcnt vmcnt(0)
	global_atomic_add_x2 v[0:1], v[2:3], off offset:8 sc1
.LBB3_789:
	s_or_b64 exec, exec, s[16:17]
	s_waitcnt vmcnt(0)
	global_load_dwordx2 v[2:3], v[0:1], off offset:16
	s_waitcnt vmcnt(0)
	v_cmp_eq_u64_e32 vcc, 0, v[2:3]
	s_cbranch_vccnz .LBB3_791
; %bb.790:
	global_load_dword v0, v[0:1], off offset:24
	v_mov_b32_e32 v1, 0
	buffer_wbl2 sc0 sc1
	s_waitcnt vmcnt(0)
	global_store_dwordx2 v[2:3], v[0:1], off sc0 sc1
	v_and_b32_e32 v0, 0xffffff, v0
	s_nop 0
	v_readfirstlane_b32 m0, v0
	s_sendmsg sendmsg(MSG_INTERRUPT)
.LBB3_791:
	s_or_b64 exec, exec, s[6:7]
	v_lshl_add_u64 v[0:1], v[6:7], 0, v[48:49]
	s_branch .LBB3_795
.LBB3_792:                              ;   in Loop: Header=BB3_795 Depth=1
	s_or_b64 exec, exec, s[6:7]
	v_readfirstlane_b32 s6, v2
	s_cmp_eq_u32 s6, 0
	s_cbranch_scc1 .LBB3_794
; %bb.793:                              ;   in Loop: Header=BB3_795 Depth=1
	s_sleep 1
	s_cbranch_execnz .LBB3_795
	s_branch .LBB3_797
.LBB3_794:
	s_branch .LBB3_797
.LBB3_795:                              ; =>This Inner Loop Header: Depth=1
	v_mov_b32_e32 v2, 1
	s_and_saveexec_b64 s[6:7], s[0:1]
	s_cbranch_execz .LBB3_792
; %bb.796:                              ;   in Loop: Header=BB3_795 Depth=1
	global_load_dword v2, v[8:9], off offset:20 sc0 sc1
	s_waitcnt vmcnt(0)
	buffer_inv sc0 sc1
	v_and_b32_e32 v2, 1, v2
	s_branch .LBB3_792
.LBB3_797:
	global_load_dwordx2 v[2:3], v[0:1], off
	s_and_saveexec_b64 s[6:7], s[0:1]
	s_cbranch_execz .LBB3_800
; %bb.798:
	v_mov_b32_e32 v8, 0
	global_load_dwordx2 v[0:1], v8, s[26:27] offset:40
	global_load_dwordx2 v[10:11], v8, s[26:27] offset:24 sc0 sc1
	global_load_dwordx2 v[12:13], v8, s[26:27]
	s_mov_b64 s[0:1], 0
	s_waitcnt vmcnt(2)
	v_lshl_add_u64 v[4:5], v[0:1], 0, 1
	v_lshl_add_u64 v[14:15], v[4:5], 0, s[4:5]
	v_cmp_eq_u64_e32 vcc, 0, v[14:15]
	s_waitcnt vmcnt(1)
	v_mov_b32_e32 v6, v10
	v_cndmask_b32_e32 v5, v15, v5, vcc
	v_cndmask_b32_e32 v4, v14, v4, vcc
	v_and_b32_e32 v1, v5, v1
	v_and_b32_e32 v0, v4, v0
	v_mul_lo_u32 v1, v1, 24
	v_mul_hi_u32 v7, v0, 24
	v_mul_lo_u32 v0, v0, 24
	v_add_u32_e32 v1, v7, v1
	s_waitcnt vmcnt(0)
	v_lshl_add_u64 v[0:1], v[12:13], 0, v[0:1]
	global_store_dwordx2 v[0:1], v[10:11], off
	v_mov_b32_e32 v7, v11
	buffer_wbl2 sc0 sc1
	s_waitcnt vmcnt(0)
	global_atomic_cmpswap_x2 v[6:7], v8, v[4:7], s[26:27] offset:24 sc0 sc1
	s_waitcnt vmcnt(0)
	v_cmp_ne_u64_e32 vcc, v[6:7], v[10:11]
	s_and_b64 exec, exec, vcc
	s_cbranch_execz .LBB3_800
.LBB3_799:                              ; =>This Inner Loop Header: Depth=1
	s_sleep 1
	global_store_dwordx2 v[0:1], v[6:7], off
	buffer_wbl2 sc0 sc1
	s_waitcnt vmcnt(0)
	global_atomic_cmpswap_x2 v[10:11], v8, v[4:7], s[26:27] offset:24 sc0 sc1
	s_waitcnt vmcnt(0)
	v_cmp_eq_u64_e32 vcc, v[10:11], v[6:7]
	s_or_b64 s[0:1], vcc, s[0:1]
	v_mov_b64_e32 v[6:7], v[10:11]
	s_andn2_b64 exec, exec, s[0:1]
	s_cbranch_execnz .LBB3_799
.LBB3_800:
	s_or_b64 exec, exec, s[6:7]
.LBB3_801:
	v_readfirstlane_b32 s0, v37
	s_waitcnt vmcnt(0)
	v_mov_b64_e32 v[0:1], 0
	v_cmp_eq_u32_e64 s[0:1], s0, v37
	s_and_saveexec_b64 s[4:5], s[0:1]
	s_cbranch_execz .LBB3_807
; %bb.802:
	v_mov_b32_e32 v4, 0
	global_load_dwordx2 v[8:9], v4, s[26:27] offset:24 sc0 sc1
	s_waitcnt vmcnt(0)
	buffer_inv sc0 sc1
	global_load_dwordx2 v[0:1], v4, s[26:27] offset:40
	global_load_dwordx2 v[6:7], v4, s[26:27]
	s_waitcnt vmcnt(1)
	v_and_b32_e32 v0, v0, v8
	v_and_b32_e32 v1, v1, v9
	v_mul_lo_u32 v1, v1, 24
	v_mul_hi_u32 v5, v0, 24
	v_add_u32_e32 v1, v5, v1
	v_mul_lo_u32 v0, v0, 24
	s_waitcnt vmcnt(0)
	v_lshl_add_u64 v[0:1], v[6:7], 0, v[0:1]
	global_load_dwordx2 v[6:7], v[0:1], off sc0 sc1
	s_waitcnt vmcnt(0)
	global_atomic_cmpswap_x2 v[0:1], v4, v[6:9], s[26:27] offset:24 sc0 sc1
	s_waitcnt vmcnt(0)
	buffer_inv sc0 sc1
	v_cmp_ne_u64_e32 vcc, v[0:1], v[8:9]
	s_and_saveexec_b64 s[6:7], vcc
	s_cbranch_execz .LBB3_806
; %bb.803:
	s_mov_b64 s[10:11], 0
.LBB3_804:                              ; =>This Inner Loop Header: Depth=1
	s_sleep 1
	global_load_dwordx2 v[6:7], v4, s[26:27] offset:40
	global_load_dwordx2 v[10:11], v4, s[26:27]
	v_mov_b64_e32 v[8:9], v[0:1]
	s_waitcnt vmcnt(1)
	v_and_b32_e32 v0, v6, v8
	s_waitcnt vmcnt(0)
	v_mad_u64_u32 v[0:1], s[16:17], v0, 24, v[10:11]
	v_and_b32_e32 v5, v7, v9
	v_mov_b32_e32 v6, v1
	v_mad_u64_u32 v[6:7], s[16:17], v5, 24, v[6:7]
	v_mov_b32_e32 v1, v6
	global_load_dwordx2 v[6:7], v[0:1], off sc0 sc1
	s_waitcnt vmcnt(0)
	global_atomic_cmpswap_x2 v[0:1], v4, v[6:9], s[26:27] offset:24 sc0 sc1
	s_waitcnt vmcnt(0)
	buffer_inv sc0 sc1
	v_cmp_eq_u64_e32 vcc, v[0:1], v[8:9]
	s_or_b64 s[10:11], vcc, s[10:11]
	s_andn2_b64 exec, exec, s[10:11]
	s_cbranch_execnz .LBB3_804
; %bb.805:
	s_or_b64 exec, exec, s[10:11]
.LBB3_806:
	s_or_b64 exec, exec, s[6:7]
.LBB3_807:
	s_or_b64 exec, exec, s[4:5]
	v_mov_b32_e32 v5, 0
	global_load_dwordx2 v[10:11], v5, s[26:27] offset:40
	global_load_dwordx4 v[6:9], v5, s[26:27]
	v_readfirstlane_b32 s4, v0
	v_readfirstlane_b32 s5, v1
	s_mov_b64 s[6:7], exec
	s_waitcnt vmcnt(1)
	v_readfirstlane_b32 s10, v10
	v_readfirstlane_b32 s11, v11
	s_and_b64 s[10:11], s[4:5], s[10:11]
	s_mul_i32 s15, s11, 24
	s_mul_hi_u32 s16, s10, 24
	s_add_i32 s17, s16, s15
	s_mul_i32 s16, s10, 24
	s_waitcnt vmcnt(0)
	v_lshl_add_u64 v[10:11], v[6:7], 0, s[16:17]
	s_and_saveexec_b64 s[16:17], s[0:1]
	s_cbranch_execz .LBB3_809
; %bb.808:
	v_mov_b64_e32 v[12:13], s[6:7]
	v_mov_b32_e32 v14, 2
	v_mov_b32_e32 v15, 1
	global_store_dwordx4 v[10:11], v[12:15], off offset:8
.LBB3_809:
	s_or_b64 exec, exec, s[16:17]
	s_lshl_b64 s[6:7], s[10:11], 12
	v_lshl_add_u64 v[0:1], v[8:9], 0, s[6:7]
	s_movk_i32 s6, 0xff1d
	s_mov_b32 s36, 0
	v_and_or_b32 v2, v2, s6, 34
	v_mov_b32_e32 v4, 58
	v_readfirstlane_b32 s6, v0
	v_readfirstlane_b32 s7, v1
	s_mov_b32 s37, s36
	s_mov_b32 s38, s36
	;; [unrolled: 1-line block ×3, first 2 shown]
	s_nop 1
	global_store_dwordx4 v48, v[2:5], s[6:7]
	v_mov_b64_e32 v[0:1], s[36:37]
	s_nop 0
	v_mov_b64_e32 v[2:3], s[38:39]
	global_store_dwordx4 v48, v[0:3], s[6:7] offset:16
	global_store_dwordx4 v48, v[0:3], s[6:7] offset:32
	;; [unrolled: 1-line block ×3, first 2 shown]
	s_and_saveexec_b64 s[6:7], s[0:1]
	s_cbranch_execz .LBB3_817
; %bb.810:
	v_mov_b32_e32 v8, 0
	global_load_dwordx2 v[14:15], v8, s[26:27] offset:32 sc0 sc1
	global_load_dwordx2 v[0:1], v8, s[26:27] offset:40
	v_mov_b32_e32 v12, s4
	v_mov_b32_e32 v13, s5
	s_waitcnt vmcnt(0)
	v_readfirstlane_b32 s10, v0
	v_readfirstlane_b32 s11, v1
	s_and_b64 s[10:11], s[10:11], s[4:5]
	s_mul_i32 s11, s11, 24
	s_mul_hi_u32 s15, s10, 24
	s_mul_i32 s10, s10, 24
	s_add_i32 s11, s15, s11
	v_lshl_add_u64 v[4:5], v[6:7], 0, s[10:11]
	global_store_dwordx2 v[4:5], v[14:15], off
	buffer_wbl2 sc0 sc1
	s_waitcnt vmcnt(0)
	global_atomic_cmpswap_x2 v[2:3], v8, v[12:15], s[26:27] offset:32 sc0 sc1
	s_waitcnt vmcnt(0)
	v_cmp_ne_u64_e32 vcc, v[2:3], v[14:15]
	s_and_saveexec_b64 s[10:11], vcc
	s_cbranch_execz .LBB3_813
; %bb.811:
	s_mov_b64 s[16:17], 0
.LBB3_812:                              ; =>This Inner Loop Header: Depth=1
	s_sleep 1
	global_store_dwordx2 v[4:5], v[2:3], off
	v_mov_b32_e32 v0, s4
	v_mov_b32_e32 v1, s5
	buffer_wbl2 sc0 sc1
	s_waitcnt vmcnt(0)
	global_atomic_cmpswap_x2 v[0:1], v8, v[0:3], s[26:27] offset:32 sc0 sc1
	s_waitcnt vmcnt(0)
	v_cmp_eq_u64_e32 vcc, v[0:1], v[2:3]
	s_or_b64 s[16:17], vcc, s[16:17]
	v_mov_b64_e32 v[2:3], v[0:1]
	s_andn2_b64 exec, exec, s[16:17]
	s_cbranch_execnz .LBB3_812
.LBB3_813:
	s_or_b64 exec, exec, s[10:11]
	v_mov_b32_e32 v3, 0
	global_load_dwordx2 v[0:1], v3, s[26:27] offset:16
	s_mov_b64 s[10:11], exec
	v_mbcnt_lo_u32_b32 v2, s10, 0
	v_mbcnt_hi_u32_b32 v2, s11, v2
	v_cmp_eq_u32_e32 vcc, 0, v2
	s_and_saveexec_b64 s[16:17], vcc
	s_cbranch_execz .LBB3_815
; %bb.814:
	s_bcnt1_i32_b64 s10, s[10:11]
	v_mov_b32_e32 v2, s10
	buffer_wbl2 sc0 sc1
	s_waitcnt vmcnt(0)
	global_atomic_add_x2 v[0:1], v[2:3], off offset:8 sc1
.LBB3_815:
	s_or_b64 exec, exec, s[16:17]
	s_waitcnt vmcnt(0)
	global_load_dwordx2 v[2:3], v[0:1], off offset:16
	s_waitcnt vmcnt(0)
	v_cmp_eq_u64_e32 vcc, 0, v[2:3]
	s_cbranch_vccnz .LBB3_817
; %bb.816:
	global_load_dword v0, v[0:1], off offset:24
	v_mov_b32_e32 v1, 0
	buffer_wbl2 sc0 sc1
	s_waitcnt vmcnt(0)
	global_store_dwordx2 v[2:3], v[0:1], off sc0 sc1
	v_and_b32_e32 v0, 0xffffff, v0
	s_nop 0
	v_readfirstlane_b32 m0, v0
	s_sendmsg sendmsg(MSG_INTERRUPT)
.LBB3_817:
	s_or_b64 exec, exec, s[6:7]
	s_branch .LBB3_821
.LBB3_818:                              ;   in Loop: Header=BB3_821 Depth=1
	s_or_b64 exec, exec, s[6:7]
	v_readfirstlane_b32 s6, v0
	s_cmp_eq_u32 s6, 0
	s_cbranch_scc1 .LBB3_820
; %bb.819:                              ;   in Loop: Header=BB3_821 Depth=1
	s_sleep 1
	s_cbranch_execnz .LBB3_821
	s_branch .LBB3_823
.LBB3_820:
	s_branch .LBB3_823
.LBB3_821:                              ; =>This Inner Loop Header: Depth=1
	v_mov_b32_e32 v0, 1
	s_and_saveexec_b64 s[6:7], s[0:1]
	s_cbranch_execz .LBB3_818
; %bb.822:                              ;   in Loop: Header=BB3_821 Depth=1
	global_load_dword v0, v[10:11], off offset:20 sc0 sc1
	s_waitcnt vmcnt(0)
	buffer_inv sc0 sc1
	v_and_b32_e32 v0, 1, v0
	s_branch .LBB3_818
.LBB3_823:
	s_and_saveexec_b64 s[6:7], s[0:1]
	s_cbranch_execz .LBB3_826
; %bb.824:
	v_mov_b32_e32 v6, 0
	global_load_dwordx2 v[4:5], v6, s[26:27] offset:40
	global_load_dwordx2 v[8:9], v6, s[26:27] offset:24 sc0 sc1
	global_load_dwordx2 v[10:11], v6, s[26:27]
	s_mov_b64 s[0:1], 0
	s_waitcnt vmcnt(2)
	v_lshl_add_u64 v[0:1], v[4:5], 0, 1
	v_lshl_add_u64 v[12:13], v[0:1], 0, s[4:5]
	v_cmp_eq_u64_e32 vcc, 0, v[12:13]
	s_waitcnt vmcnt(1)
	v_mov_b32_e32 v2, v8
	v_cndmask_b32_e32 v1, v13, v1, vcc
	v_cndmask_b32_e32 v0, v12, v0, vcc
	v_and_b32_e32 v3, v1, v5
	v_and_b32_e32 v4, v0, v4
	v_mul_lo_u32 v3, v3, 24
	v_mul_hi_u32 v5, v4, 24
	v_mul_lo_u32 v4, v4, 24
	v_add_u32_e32 v5, v5, v3
	s_waitcnt vmcnt(0)
	v_lshl_add_u64 v[4:5], v[10:11], 0, v[4:5]
	global_store_dwordx2 v[4:5], v[8:9], off
	v_mov_b32_e32 v3, v9
	buffer_wbl2 sc0 sc1
	s_waitcnt vmcnt(0)
	global_atomic_cmpswap_x2 v[2:3], v6, v[0:3], s[26:27] offset:24 sc0 sc1
	s_waitcnt vmcnt(0)
	v_cmp_ne_u64_e32 vcc, v[2:3], v[8:9]
	s_and_b64 exec, exec, vcc
	s_cbranch_execz .LBB3_826
.LBB3_825:                              ; =>This Inner Loop Header: Depth=1
	s_sleep 1
	global_store_dwordx2 v[4:5], v[2:3], off
	buffer_wbl2 sc0 sc1
	s_waitcnt vmcnt(0)
	global_atomic_cmpswap_x2 v[8:9], v6, v[0:3], s[26:27] offset:24 sc0 sc1
	s_waitcnt vmcnt(0)
	v_cmp_eq_u64_e32 vcc, v[8:9], v[2:3]
	s_or_b64 s[0:1], vcc, s[0:1]
	v_mov_b64_e32 v[2:3], v[8:9]
	s_andn2_b64 exec, exec, s[0:1]
	s_cbranch_execnz .LBB3_825
.LBB3_826:
	s_or_b64 exec, exec, s[6:7]
	v_readfirstlane_b32 s0, v37
	v_mov_b64_e32 v[4:5], 0
	s_nop 0
	v_cmp_eq_u32_e64 s[0:1], s0, v37
	s_and_saveexec_b64 s[4:5], s[0:1]
	s_cbranch_execz .LBB3_832
; %bb.827:
	v_mov_b32_e32 v0, 0
	global_load_dwordx2 v[6:7], v0, s[26:27] offset:24 sc0 sc1
	s_waitcnt vmcnt(0)
	buffer_inv sc0 sc1
	global_load_dwordx2 v[2:3], v0, s[26:27] offset:40
	global_load_dwordx2 v[4:5], v0, s[26:27]
	s_waitcnt vmcnt(1)
	v_and_b32_e32 v1, v2, v6
	v_and_b32_e32 v2, v3, v7
	v_mul_lo_u32 v2, v2, 24
	v_mul_hi_u32 v3, v1, 24
	v_add_u32_e32 v3, v3, v2
	v_mul_lo_u32 v2, v1, 24
	s_waitcnt vmcnt(0)
	v_lshl_add_u64 v[2:3], v[4:5], 0, v[2:3]
	global_load_dwordx2 v[4:5], v[2:3], off sc0 sc1
	s_waitcnt vmcnt(0)
	global_atomic_cmpswap_x2 v[4:5], v0, v[4:7], s[26:27] offset:24 sc0 sc1
	s_waitcnt vmcnt(0)
	buffer_inv sc0 sc1
	v_cmp_ne_u64_e32 vcc, v[4:5], v[6:7]
	s_and_saveexec_b64 s[6:7], vcc
	s_cbranch_execz .LBB3_831
; %bb.828:
	s_mov_b64 s[10:11], 0
.LBB3_829:                              ; =>This Inner Loop Header: Depth=1
	s_sleep 1
	global_load_dwordx2 v[2:3], v0, s[26:27] offset:40
	global_load_dwordx2 v[8:9], v0, s[26:27]
	v_mov_b64_e32 v[6:7], v[4:5]
	s_waitcnt vmcnt(1)
	v_and_b32_e32 v2, v2, v6
	v_and_b32_e32 v1, v3, v7
	s_waitcnt vmcnt(0)
	v_mad_u64_u32 v[2:3], s[16:17], v2, 24, v[8:9]
	v_mov_b32_e32 v4, v3
	v_mad_u64_u32 v[4:5], s[16:17], v1, 24, v[4:5]
	v_mov_b32_e32 v3, v4
	global_load_dwordx2 v[4:5], v[2:3], off sc0 sc1
	s_waitcnt vmcnt(0)
	global_atomic_cmpswap_x2 v[4:5], v0, v[4:7], s[26:27] offset:24 sc0 sc1
	s_waitcnt vmcnt(0)
	buffer_inv sc0 sc1
	v_cmp_eq_u64_e32 vcc, v[4:5], v[6:7]
	s_or_b64 s[10:11], vcc, s[10:11]
	s_andn2_b64 exec, exec, s[10:11]
	s_cbranch_execnz .LBB3_829
; %bb.830:
	s_or_b64 exec, exec, s[10:11]
.LBB3_831:
	s_or_b64 exec, exec, s[6:7]
.LBB3_832:
	s_or_b64 exec, exec, s[4:5]
	v_mov_b32_e32 v49, 0
	global_load_dwordx2 v[6:7], v49, s[26:27] offset:40
	global_load_dwordx4 v[0:3], v49, s[26:27]
	v_readfirstlane_b32 s4, v4
	v_readfirstlane_b32 s5, v5
	s_mov_b64 s[6:7], exec
	s_waitcnt vmcnt(1)
	v_readfirstlane_b32 s10, v6
	v_readfirstlane_b32 s11, v7
	s_and_b64 s[10:11], s[4:5], s[10:11]
	s_mul_i32 s15, s11, 24
	s_mul_hi_u32 s16, s10, 24
	s_add_i32 s17, s16, s15
	s_mul_i32 s16, s10, 24
	s_waitcnt vmcnt(0)
	v_lshl_add_u64 v[4:5], v[0:1], 0, s[16:17]
	s_and_saveexec_b64 s[16:17], s[0:1]
	s_cbranch_execz .LBB3_834
; %bb.833:
	v_mov_b64_e32 v[6:7], s[6:7]
	v_mov_b32_e32 v8, 2
	v_mov_b32_e32 v9, 1
	global_store_dwordx4 v[4:5], v[6:9], off offset:8
.LBB3_834:
	s_or_b64 exec, exec, s[16:17]
	s_lshl_b64 s[6:7], s[10:11], 12
	v_lshl_add_u64 v[6:7], v[2:3], 0, s[6:7]
	s_mov_b32 s36, 0
	v_mov_b32_e32 v8, 33
	v_mov_b32_e32 v9, v49
	;; [unrolled: 1-line block ×4, first 2 shown]
	v_readfirstlane_b32 s6, v6
	v_readfirstlane_b32 s7, v7
	s_mov_b32 s37, s36
	s_mov_b32 s38, s36
	;; [unrolled: 1-line block ×3, first 2 shown]
	s_nop 1
	global_store_dwordx4 v48, v[8:11], s[6:7]
	s_nop 1
	v_mov_b64_e32 v[8:9], s[36:37]
	v_mov_b64_e32 v[10:11], s[38:39]
	global_store_dwordx4 v48, v[8:11], s[6:7] offset:16
	global_store_dwordx4 v48, v[8:11], s[6:7] offset:32
	;; [unrolled: 1-line block ×3, first 2 shown]
	s_and_saveexec_b64 s[6:7], s[0:1]
	s_cbranch_execz .LBB3_842
; %bb.835:
	v_mov_b32_e32 v10, 0
	global_load_dwordx2 v[14:15], v10, s[26:27] offset:32 sc0 sc1
	global_load_dwordx2 v[2:3], v10, s[26:27] offset:40
	v_mov_b32_e32 v12, s4
	v_mov_b32_e32 v13, s5
	s_waitcnt vmcnt(0)
	v_readfirstlane_b32 s10, v2
	v_readfirstlane_b32 s11, v3
	s_and_b64 s[10:11], s[10:11], s[4:5]
	s_mul_i32 s11, s11, 24
	s_mul_hi_u32 s15, s10, 24
	s_mul_i32 s10, s10, 24
	s_add_i32 s11, s15, s11
	v_lshl_add_u64 v[8:9], v[0:1], 0, s[10:11]
	global_store_dwordx2 v[8:9], v[14:15], off
	buffer_wbl2 sc0 sc1
	s_waitcnt vmcnt(0)
	global_atomic_cmpswap_x2 v[2:3], v10, v[12:15], s[26:27] offset:32 sc0 sc1
	s_waitcnt vmcnt(0)
	v_cmp_ne_u64_e32 vcc, v[2:3], v[14:15]
	s_and_saveexec_b64 s[10:11], vcc
	s_cbranch_execz .LBB3_838
; %bb.836:
	s_mov_b64 s[16:17], 0
.LBB3_837:                              ; =>This Inner Loop Header: Depth=1
	s_sleep 1
	global_store_dwordx2 v[8:9], v[2:3], off
	v_mov_b32_e32 v0, s4
	v_mov_b32_e32 v1, s5
	buffer_wbl2 sc0 sc1
	s_waitcnt vmcnt(0)
	global_atomic_cmpswap_x2 v[0:1], v10, v[0:3], s[26:27] offset:32 sc0 sc1
	s_waitcnt vmcnt(0)
	v_cmp_eq_u64_e32 vcc, v[0:1], v[2:3]
	s_or_b64 s[16:17], vcc, s[16:17]
	v_mov_b64_e32 v[2:3], v[0:1]
	s_andn2_b64 exec, exec, s[16:17]
	s_cbranch_execnz .LBB3_837
.LBB3_838:
	s_or_b64 exec, exec, s[10:11]
	v_mov_b32_e32 v3, 0
	global_load_dwordx2 v[0:1], v3, s[26:27] offset:16
	s_mov_b64 s[10:11], exec
	v_mbcnt_lo_u32_b32 v2, s10, 0
	v_mbcnt_hi_u32_b32 v2, s11, v2
	v_cmp_eq_u32_e32 vcc, 0, v2
	s_and_saveexec_b64 s[16:17], vcc
	s_cbranch_execz .LBB3_840
; %bb.839:
	s_bcnt1_i32_b64 s10, s[10:11]
	v_mov_b32_e32 v2, s10
	buffer_wbl2 sc0 sc1
	s_waitcnt vmcnt(0)
	global_atomic_add_x2 v[0:1], v[2:3], off offset:8 sc1
.LBB3_840:
	s_or_b64 exec, exec, s[16:17]
	s_waitcnt vmcnt(0)
	global_load_dwordx2 v[2:3], v[0:1], off offset:16
	s_waitcnt vmcnt(0)
	v_cmp_eq_u64_e32 vcc, 0, v[2:3]
	s_cbranch_vccnz .LBB3_842
; %bb.841:
	global_load_dword v0, v[0:1], off offset:24
	v_mov_b32_e32 v1, 0
	buffer_wbl2 sc0 sc1
	s_waitcnt vmcnt(0)
	global_store_dwordx2 v[2:3], v[0:1], off sc0 sc1
	v_and_b32_e32 v0, 0xffffff, v0
	s_nop 0
	v_readfirstlane_b32 m0, v0
	s_sendmsg sendmsg(MSG_INTERRUPT)
.LBB3_842:
	s_or_b64 exec, exec, s[6:7]
	v_lshl_add_u64 v[0:1], v[6:7], 0, v[48:49]
	s_branch .LBB3_846
.LBB3_843:                              ;   in Loop: Header=BB3_846 Depth=1
	s_or_b64 exec, exec, s[6:7]
	v_readfirstlane_b32 s6, v2
	s_cmp_eq_u32 s6, 0
	s_cbranch_scc1 .LBB3_845
; %bb.844:                              ;   in Loop: Header=BB3_846 Depth=1
	s_sleep 1
	s_cbranch_execnz .LBB3_846
	s_branch .LBB3_848
.LBB3_845:
	s_branch .LBB3_848
.LBB3_846:                              ; =>This Inner Loop Header: Depth=1
	v_mov_b32_e32 v2, 1
	s_and_saveexec_b64 s[6:7], s[0:1]
	s_cbranch_execz .LBB3_843
; %bb.847:                              ;   in Loop: Header=BB3_846 Depth=1
	global_load_dword v2, v[4:5], off offset:20 sc0 sc1
	s_waitcnt vmcnt(0)
	buffer_inv sc0 sc1
	v_and_b32_e32 v2, 1, v2
	s_branch .LBB3_843
.LBB3_848:
	global_load_dwordx2 v[0:1], v[0:1], off
	s_and_saveexec_b64 s[6:7], s[0:1]
	s_cbranch_execz .LBB3_851
; %bb.849:
	v_mov_b32_e32 v8, 0
	global_load_dwordx2 v[6:7], v8, s[26:27] offset:40
	global_load_dwordx2 v[10:11], v8, s[26:27] offset:24 sc0 sc1
	global_load_dwordx2 v[12:13], v8, s[26:27]
	s_mov_b64 s[0:1], 0
	s_waitcnt vmcnt(2)
	v_lshl_add_u64 v[2:3], v[6:7], 0, 1
	v_lshl_add_u64 v[14:15], v[2:3], 0, s[4:5]
	v_cmp_eq_u64_e32 vcc, 0, v[14:15]
	s_waitcnt vmcnt(1)
	v_mov_b32_e32 v4, v10
	v_cndmask_b32_e32 v3, v15, v3, vcc
	v_cndmask_b32_e32 v2, v14, v2, vcc
	v_and_b32_e32 v5, v3, v7
	v_and_b32_e32 v6, v2, v6
	v_mul_lo_u32 v5, v5, 24
	v_mul_hi_u32 v7, v6, 24
	v_mul_lo_u32 v6, v6, 24
	v_add_u32_e32 v7, v7, v5
	s_waitcnt vmcnt(0)
	v_lshl_add_u64 v[6:7], v[12:13], 0, v[6:7]
	global_store_dwordx2 v[6:7], v[10:11], off
	v_mov_b32_e32 v5, v11
	buffer_wbl2 sc0 sc1
	s_waitcnt vmcnt(0)
	global_atomic_cmpswap_x2 v[4:5], v8, v[2:5], s[26:27] offset:24 sc0 sc1
	s_waitcnt vmcnt(0)
	v_cmp_ne_u64_e32 vcc, v[4:5], v[10:11]
	s_and_b64 exec, exec, vcc
	s_cbranch_execz .LBB3_851
.LBB3_850:                              ; =>This Inner Loop Header: Depth=1
	s_sleep 1
	global_store_dwordx2 v[6:7], v[4:5], off
	buffer_wbl2 sc0 sc1
	s_waitcnt vmcnt(0)
	global_atomic_cmpswap_x2 v[10:11], v8, v[2:5], s[26:27] offset:24 sc0 sc1
	s_waitcnt vmcnt(0)
	v_cmp_eq_u64_e32 vcc, v[10:11], v[4:5]
	s_or_b64 s[0:1], vcc, s[0:1]
	v_mov_b64_e32 v[4:5], v[10:11]
	s_andn2_b64 exec, exec, s[0:1]
	s_cbranch_execnz .LBB3_850
.LBB3_851:
	s_or_b64 exec, exec, s[6:7]
	s_getpc_b64 s[4:5]
	s_add_u32 s4, s4, .str.7@rel32@lo+4
	s_addc_u32 s5, s5, .str.7@rel32@hi+12
	s_cmp_lg_u64 s[4:5], 0
	s_cbranch_scc0 .LBB3_936
; %bb.852:
	s_waitcnt vmcnt(0)
	v_and_b32_e32 v28, 2, v0
	v_mov_b32_e32 v31, 0
	v_and_b32_e32 v2, -3, v0
	v_mov_b32_e32 v3, v1
	s_mov_b64 s[6:7], 4
	v_mov_b32_e32 v6, 2
	v_mov_b32_e32 v7, 1
	s_branch .LBB3_854
.LBB3_853:                              ;   in Loop: Header=BB3_854 Depth=1
	s_or_b64 exec, exec, s[20:21]
	s_sub_u32 s6, s6, s10
	s_subb_u32 s7, s7, s11
	s_add_u32 s4, s4, s10
	s_addc_u32 s5, s5, s11
	s_cmp_lg_u64 s[6:7], 0
	s_cbranch_scc0 .LBB3_935
.LBB3_854:                              ; =>This Loop Header: Depth=1
                                        ;     Child Loop BB3_857 Depth 2
                                        ;     Child Loop BB3_864 Depth 2
	;; [unrolled: 1-line block ×11, first 2 shown]
	v_cmp_lt_u64_e64 s[0:1], s[6:7], 56
	s_and_b64 s[0:1], s[0:1], exec
	v_cmp_gt_u64_e64 s[0:1], s[6:7], 7
	s_cselect_b32 s11, s7, 0
	s_cselect_b32 s10, s6, 56
	s_and_b64 vcc, exec, s[0:1]
	s_cbranch_vccnz .LBB3_859
; %bb.855:                              ;   in Loop: Header=BB3_854 Depth=1
	s_mov_b64 s[0:1], 0
	s_cmp_eq_u64 s[6:7], 0
	v_mov_b64_e32 v[10:11], 0
	s_cbranch_scc1 .LBB3_858
; %bb.856:                              ;   in Loop: Header=BB3_854 Depth=1
	s_lshl_b64 s[16:17], s[10:11], 3
	s_mov_b64 s[20:21], 0
	v_mov_b64_e32 v[10:11], 0
	s_mov_b64 vcc, s[4:5]
.LBB3_857:                              ;   Parent Loop BB3_854 Depth=1
                                        ; =>  This Inner Loop Header: Depth=2
	global_load_ubyte v4, v31, vcc
	s_waitcnt vmcnt(0)
	v_and_b32_e32 v30, 0xffff, v4
	v_lshlrev_b64 v[4:5], s20, v[30:31]
	s_add_u32 s20, s20, 8
	s_addc_u32 s21, s21, 0
	s_add_u32 vcc_lo, vcc_lo, 1
	s_addc_u32 vcc_hi, vcc_hi, 0
	v_or_b32_e32 v10, v4, v10
	s_cmp_lg_u32 s16, s20
	v_or_b32_e32 v11, v5, v11
	s_cbranch_scc1 .LBB3_857
.LBB3_858:                              ;   in Loop: Header=BB3_854 Depth=1
	s_mov_b32 s15, 0
	s_andn2_b64 vcc, exec, s[0:1]
	s_mov_b64 s[0:1], s[4:5]
	s_cbranch_vccz .LBB3_860
	s_branch .LBB3_861
.LBB3_859:                              ;   in Loop: Header=BB3_854 Depth=1
                                        ; implicit-def: $vgpr10_vgpr11
                                        ; implicit-def: $sgpr15
	s_mov_b64 s[0:1], s[4:5]
.LBB3_860:                              ;   in Loop: Header=BB3_854 Depth=1
	global_load_dwordx2 v[10:11], v31, s[4:5]
	s_add_i32 s15, s10, -8
	s_add_u32 s0, s4, 8
	s_addc_u32 s1, s5, 0
.LBB3_861:                              ;   in Loop: Header=BB3_854 Depth=1
	s_cmp_gt_u32 s15, 7
	s_cbranch_scc1 .LBB3_865
; %bb.862:                              ;   in Loop: Header=BB3_854 Depth=1
	s_cmp_eq_u32 s15, 0
	s_cbranch_scc1 .LBB3_866
; %bb.863:                              ;   in Loop: Header=BB3_854 Depth=1
	s_mov_b64 s[16:17], 0
	v_mov_b64_e32 v[12:13], 0
	s_mov_b64 s[20:21], 0
.LBB3_864:                              ;   Parent Loop BB3_854 Depth=1
                                        ; =>  This Inner Loop Header: Depth=2
	s_add_u32 vcc_lo, s0, s20
	s_addc_u32 vcc_hi, s1, s21
	global_load_ubyte v4, v31, vcc
	s_add_u32 s20, s20, 1
	s_addc_u32 s21, s21, 0
	s_waitcnt vmcnt(0)
	v_and_b32_e32 v30, 0xffff, v4
	v_lshlrev_b64 v[4:5], s16, v[30:31]
	s_add_u32 s16, s16, 8
	s_addc_u32 s17, s17, 0
	v_or_b32_e32 v12, v4, v12
	s_cmp_lg_u32 s15, s20
	v_or_b32_e32 v13, v5, v13
	s_cbranch_scc1 .LBB3_864
	s_branch .LBB3_867
.LBB3_865:                              ;   in Loop: Header=BB3_854 Depth=1
                                        ; implicit-def: $vgpr12_vgpr13
                                        ; implicit-def: $sgpr30
	s_branch .LBB3_868
.LBB3_866:                              ;   in Loop: Header=BB3_854 Depth=1
	v_mov_b64_e32 v[12:13], 0
.LBB3_867:                              ;   in Loop: Header=BB3_854 Depth=1
	s_mov_b32 s30, 0
	s_cbranch_execnz .LBB3_869
.LBB3_868:                              ;   in Loop: Header=BB3_854 Depth=1
	global_load_dwordx2 v[12:13], v31, s[0:1]
	s_add_i32 s30, s15, -8
	s_add_u32 s0, s0, 8
	s_addc_u32 s1, s1, 0
.LBB3_869:                              ;   in Loop: Header=BB3_854 Depth=1
	s_cmp_gt_u32 s30, 7
	s_cbranch_scc1 .LBB3_873
; %bb.870:                              ;   in Loop: Header=BB3_854 Depth=1
	s_cmp_eq_u32 s30, 0
	s_cbranch_scc1 .LBB3_874
; %bb.871:                              ;   in Loop: Header=BB3_854 Depth=1
	s_mov_b64 s[16:17], 0
	v_mov_b64_e32 v[14:15], 0
	s_mov_b64 s[20:21], 0
.LBB3_872:                              ;   Parent Loop BB3_854 Depth=1
                                        ; =>  This Inner Loop Header: Depth=2
	s_add_u32 vcc_lo, s0, s20
	s_addc_u32 vcc_hi, s1, s21
	global_load_ubyte v4, v31, vcc
	s_add_u32 s20, s20, 1
	s_addc_u32 s21, s21, 0
	s_waitcnt vmcnt(0)
	v_and_b32_e32 v30, 0xffff, v4
	v_lshlrev_b64 v[4:5], s16, v[30:31]
	s_add_u32 s16, s16, 8
	s_addc_u32 s17, s17, 0
	v_or_b32_e32 v14, v4, v14
	s_cmp_lg_u32 s30, s20
	v_or_b32_e32 v15, v5, v15
	s_cbranch_scc1 .LBB3_872
	s_branch .LBB3_875
.LBB3_873:                              ;   in Loop: Header=BB3_854 Depth=1
                                        ; implicit-def: $sgpr15
	s_branch .LBB3_876
.LBB3_874:                              ;   in Loop: Header=BB3_854 Depth=1
	v_mov_b64_e32 v[14:15], 0
.LBB3_875:                              ;   in Loop: Header=BB3_854 Depth=1
	s_mov_b32 s15, 0
	s_cbranch_execnz .LBB3_877
.LBB3_876:                              ;   in Loop: Header=BB3_854 Depth=1
	global_load_dwordx2 v[14:15], v31, s[0:1]
	s_add_i32 s15, s30, -8
	s_add_u32 s0, s0, 8
	s_addc_u32 s1, s1, 0
.LBB3_877:                              ;   in Loop: Header=BB3_854 Depth=1
	s_cmp_gt_u32 s15, 7
	s_cbranch_scc1 .LBB3_881
; %bb.878:                              ;   in Loop: Header=BB3_854 Depth=1
	s_cmp_eq_u32 s15, 0
	s_cbranch_scc1 .LBB3_882
; %bb.879:                              ;   in Loop: Header=BB3_854 Depth=1
	s_mov_b64 s[16:17], 0
	v_mov_b64_e32 v[16:17], 0
	s_mov_b64 s[20:21], 0
.LBB3_880:                              ;   Parent Loop BB3_854 Depth=1
                                        ; =>  This Inner Loop Header: Depth=2
	s_add_u32 vcc_lo, s0, s20
	s_addc_u32 vcc_hi, s1, s21
	global_load_ubyte v4, v31, vcc
	s_add_u32 s20, s20, 1
	s_addc_u32 s21, s21, 0
	s_waitcnt vmcnt(0)
	v_and_b32_e32 v30, 0xffff, v4
	v_lshlrev_b64 v[4:5], s16, v[30:31]
	s_add_u32 s16, s16, 8
	s_addc_u32 s17, s17, 0
	v_or_b32_e32 v16, v4, v16
	s_cmp_lg_u32 s15, s20
	v_or_b32_e32 v17, v5, v17
	s_cbranch_scc1 .LBB3_880
	s_branch .LBB3_883
.LBB3_881:                              ;   in Loop: Header=BB3_854 Depth=1
                                        ; implicit-def: $vgpr16_vgpr17
                                        ; implicit-def: $sgpr30
	s_branch .LBB3_884
.LBB3_882:                              ;   in Loop: Header=BB3_854 Depth=1
	v_mov_b64_e32 v[16:17], 0
.LBB3_883:                              ;   in Loop: Header=BB3_854 Depth=1
	s_mov_b32 s30, 0
	s_cbranch_execnz .LBB3_885
.LBB3_884:                              ;   in Loop: Header=BB3_854 Depth=1
	global_load_dwordx2 v[16:17], v31, s[0:1]
	s_add_i32 s30, s15, -8
	s_add_u32 s0, s0, 8
	s_addc_u32 s1, s1, 0
.LBB3_885:                              ;   in Loop: Header=BB3_854 Depth=1
	s_cmp_gt_u32 s30, 7
	s_cbranch_scc1 .LBB3_889
; %bb.886:                              ;   in Loop: Header=BB3_854 Depth=1
	s_cmp_eq_u32 s30, 0
	s_cbranch_scc1 .LBB3_890
; %bb.887:                              ;   in Loop: Header=BB3_854 Depth=1
	s_mov_b64 s[16:17], 0
	v_mov_b64_e32 v[18:19], 0
	s_mov_b64 s[20:21], 0
.LBB3_888:                              ;   Parent Loop BB3_854 Depth=1
                                        ; =>  This Inner Loop Header: Depth=2
	s_add_u32 vcc_lo, s0, s20
	s_addc_u32 vcc_hi, s1, s21
	global_load_ubyte v4, v31, vcc
	s_add_u32 s20, s20, 1
	s_addc_u32 s21, s21, 0
	s_waitcnt vmcnt(0)
	v_and_b32_e32 v30, 0xffff, v4
	v_lshlrev_b64 v[4:5], s16, v[30:31]
	s_add_u32 s16, s16, 8
	s_addc_u32 s17, s17, 0
	v_or_b32_e32 v18, v4, v18
	s_cmp_lg_u32 s30, s20
	v_or_b32_e32 v19, v5, v19
	s_cbranch_scc1 .LBB3_888
	s_branch .LBB3_891
.LBB3_889:                              ;   in Loop: Header=BB3_854 Depth=1
                                        ; implicit-def: $sgpr15
	s_branch .LBB3_892
.LBB3_890:                              ;   in Loop: Header=BB3_854 Depth=1
	v_mov_b64_e32 v[18:19], 0
.LBB3_891:                              ;   in Loop: Header=BB3_854 Depth=1
	s_mov_b32 s15, 0
	s_cbranch_execnz .LBB3_893
.LBB3_892:                              ;   in Loop: Header=BB3_854 Depth=1
	global_load_dwordx2 v[18:19], v31, s[0:1]
	s_add_i32 s15, s30, -8
	s_add_u32 s0, s0, 8
	s_addc_u32 s1, s1, 0
.LBB3_893:                              ;   in Loop: Header=BB3_854 Depth=1
	s_cmp_gt_u32 s15, 7
	s_cbranch_scc1 .LBB3_897
; %bb.894:                              ;   in Loop: Header=BB3_854 Depth=1
	s_cmp_eq_u32 s15, 0
	s_cbranch_scc1 .LBB3_898
; %bb.895:                              ;   in Loop: Header=BB3_854 Depth=1
	s_mov_b64 s[16:17], 0
	v_mov_b64_e32 v[20:21], 0
	s_mov_b64 s[20:21], 0
.LBB3_896:                              ;   Parent Loop BB3_854 Depth=1
                                        ; =>  This Inner Loop Header: Depth=2
	s_add_u32 vcc_lo, s0, s20
	s_addc_u32 vcc_hi, s1, s21
	global_load_ubyte v4, v31, vcc
	s_add_u32 s20, s20, 1
	s_addc_u32 s21, s21, 0
	s_waitcnt vmcnt(0)
	v_and_b32_e32 v30, 0xffff, v4
	v_lshlrev_b64 v[4:5], s16, v[30:31]
	s_add_u32 s16, s16, 8
	s_addc_u32 s17, s17, 0
	v_or_b32_e32 v20, v4, v20
	s_cmp_lg_u32 s15, s20
	v_or_b32_e32 v21, v5, v21
	s_cbranch_scc1 .LBB3_896
	s_branch .LBB3_899
.LBB3_897:                              ;   in Loop: Header=BB3_854 Depth=1
                                        ; implicit-def: $vgpr20_vgpr21
                                        ; implicit-def: $sgpr30
	s_branch .LBB3_900
.LBB3_898:                              ;   in Loop: Header=BB3_854 Depth=1
	v_mov_b64_e32 v[20:21], 0
.LBB3_899:                              ;   in Loop: Header=BB3_854 Depth=1
	s_mov_b32 s30, 0
	s_cbranch_execnz .LBB3_901
.LBB3_900:                              ;   in Loop: Header=BB3_854 Depth=1
	global_load_dwordx2 v[20:21], v31, s[0:1]
	s_add_i32 s30, s15, -8
	s_add_u32 s0, s0, 8
	s_addc_u32 s1, s1, 0
.LBB3_901:                              ;   in Loop: Header=BB3_854 Depth=1
	s_cmp_gt_u32 s30, 7
	s_cbranch_scc1 .LBB3_905
; %bb.902:                              ;   in Loop: Header=BB3_854 Depth=1
	s_cmp_eq_u32 s30, 0
	s_cbranch_scc1 .LBB3_906
; %bb.903:                              ;   in Loop: Header=BB3_854 Depth=1
	s_mov_b64 s[16:17], 0
	v_mov_b64_e32 v[22:23], 0
	s_mov_b64 s[20:21], s[0:1]
.LBB3_904:                              ;   Parent Loop BB3_854 Depth=1
                                        ; =>  This Inner Loop Header: Depth=2
	global_load_ubyte v4, v31, s[20:21]
	s_add_i32 s30, s30, -1
	s_waitcnt vmcnt(0)
	v_and_b32_e32 v30, 0xffff, v4
	v_lshlrev_b64 v[4:5], s16, v[30:31]
	s_add_u32 s16, s16, 8
	s_addc_u32 s17, s17, 0
	s_add_u32 s20, s20, 1
	s_addc_u32 s21, s21, 0
	v_or_b32_e32 v22, v4, v22
	s_cmp_lg_u32 s30, 0
	v_or_b32_e32 v23, v5, v23
	s_cbranch_scc1 .LBB3_904
	s_branch .LBB3_907
.LBB3_905:                              ;   in Loop: Header=BB3_854 Depth=1
	s_branch .LBB3_908
.LBB3_906:                              ;   in Loop: Header=BB3_854 Depth=1
	v_mov_b64_e32 v[22:23], 0
.LBB3_907:                              ;   in Loop: Header=BB3_854 Depth=1
	s_cbranch_execnz .LBB3_909
.LBB3_908:                              ;   in Loop: Header=BB3_854 Depth=1
	global_load_dwordx2 v[22:23], v31, s[0:1]
.LBB3_909:                              ;   in Loop: Header=BB3_854 Depth=1
	v_readfirstlane_b32 s0, v37
	s_waitcnt vmcnt(0)
	v_mov_b64_e32 v[4:5], 0
	v_cmp_eq_u32_e64 s[0:1], s0, v37
	s_and_saveexec_b64 s[16:17], s[0:1]
	s_cbranch_execz .LBB3_915
; %bb.910:                              ;   in Loop: Header=BB3_854 Depth=1
	global_load_dwordx2 v[26:27], v31, s[26:27] offset:24 sc0 sc1
	s_waitcnt vmcnt(0)
	buffer_inv sc0 sc1
	global_load_dwordx2 v[4:5], v31, s[26:27] offset:40
	global_load_dwordx2 v[8:9], v31, s[26:27]
	s_waitcnt vmcnt(1)
	v_and_b32_e32 v4, v4, v26
	v_and_b32_e32 v5, v5, v27
	v_mul_lo_u32 v5, v5, 24
	v_mul_hi_u32 v24, v4, 24
	v_add_u32_e32 v5, v24, v5
	v_mul_lo_u32 v4, v4, 24
	s_waitcnt vmcnt(0)
	v_lshl_add_u64 v[4:5], v[8:9], 0, v[4:5]
	global_load_dwordx2 v[24:25], v[4:5], off sc0 sc1
	s_waitcnt vmcnt(0)
	global_atomic_cmpswap_x2 v[4:5], v31, v[24:27], s[26:27] offset:24 sc0 sc1
	s_waitcnt vmcnt(0)
	buffer_inv sc0 sc1
	v_cmp_ne_u64_e32 vcc, v[4:5], v[26:27]
	s_and_saveexec_b64 s[20:21], vcc
	s_cbranch_execz .LBB3_914
; %bb.911:                              ;   in Loop: Header=BB3_854 Depth=1
	s_mov_b64 s[30:31], 0
.LBB3_912:                              ;   Parent Loop BB3_854 Depth=1
                                        ; =>  This Inner Loop Header: Depth=2
	s_sleep 1
	global_load_dwordx2 v[8:9], v31, s[26:27] offset:40
	global_load_dwordx2 v[24:25], v31, s[26:27]
	v_mov_b64_e32 v[26:27], v[4:5]
	s_waitcnt vmcnt(1)
	v_and_b32_e32 v4, v8, v26
	s_waitcnt vmcnt(0)
	v_mad_u64_u32 v[4:5], vcc, v4, 24, v[24:25]
	v_and_b32_e32 v9, v9, v27
	v_mov_b32_e32 v8, v5
	v_mad_u64_u32 v[8:9], vcc, v9, 24, v[8:9]
	v_mov_b32_e32 v5, v8
	global_load_dwordx2 v[24:25], v[4:5], off sc0 sc1
	s_waitcnt vmcnt(0)
	global_atomic_cmpswap_x2 v[4:5], v31, v[24:27], s[26:27] offset:24 sc0 sc1
	s_waitcnt vmcnt(0)
	buffer_inv sc0 sc1
	v_cmp_eq_u64_e32 vcc, v[4:5], v[26:27]
	s_or_b64 s[30:31], vcc, s[30:31]
	s_andn2_b64 exec, exec, s[30:31]
	s_cbranch_execnz .LBB3_912
; %bb.913:                              ;   in Loop: Header=BB3_854 Depth=1
	s_or_b64 exec, exec, s[30:31]
.LBB3_914:                              ;   in Loop: Header=BB3_854 Depth=1
	s_or_b64 exec, exec, s[20:21]
.LBB3_915:                              ;   in Loop: Header=BB3_854 Depth=1
	s_or_b64 exec, exec, s[16:17]
	global_load_dwordx2 v[8:9], v31, s[26:27] offset:40
	global_load_dwordx4 v[24:27], v31, s[26:27]
	v_readfirstlane_b32 s16, v4
	v_readfirstlane_b32 s17, v5
	s_mov_b64 s[20:21], exec
	s_waitcnt vmcnt(1)
	v_readfirstlane_b32 vcc_lo, v8
	v_readfirstlane_b32 vcc_hi, v9
	s_and_b64 vcc, s[16:17], vcc
	s_mul_i32 s15, vcc_hi, 24
	s_mul_hi_u32 s30, vcc_lo, 24
	s_add_i32 s31, s30, s15
	s_mul_i32 s30, vcc_lo, 24
	s_waitcnt vmcnt(0)
	v_lshl_add_u64 v[32:33], v[24:25], 0, s[30:31]
	s_and_saveexec_b64 s[30:31], s[0:1]
	s_cbranch_execz .LBB3_917
; %bb.916:                              ;   in Loop: Header=BB3_854 Depth=1
	v_mov_b64_e32 v[4:5], s[20:21]
	global_store_dwordx4 v[32:33], v[4:7], off offset:8
.LBB3_917:                              ;   in Loop: Header=BB3_854 Depth=1
	s_or_b64 exec, exec, s[30:31]
	s_lshl_b64 s[20:21], vcc, 12
	v_or_b32_e32 v5, v2, v28
	v_cmp_gt_u64_e64 vcc, s[6:7], 56
	s_lshl_b32 s15, s10, 2
	s_add_i32 s15, s15, 28
	v_cndmask_b32_e32 v2, v5, v2, vcc
	v_lshl_add_u64 v[26:27], v[26:27], 0, s[20:21]
	v_or_b32_e32 v4, 0, v3
	s_and_b32 s15, s15, 0x1e0
	v_and_b32_e32 v2, 0xffffff1f, v2
	v_cndmask_b32_e32 v9, v4, v3, vcc
	v_or_b32_e32 v8, s15, v2
	v_readfirstlane_b32 s20, v26
	v_readfirstlane_b32 s21, v27
	s_nop 4
	global_store_dwordx4 v48, v[8:11], s[20:21]
	global_store_dwordx4 v48, v[12:15], s[20:21] offset:16
	global_store_dwordx4 v48, v[16:19], s[20:21] offset:32
	;; [unrolled: 1-line block ×3, first 2 shown]
	s_and_saveexec_b64 s[20:21], s[0:1]
	s_cbranch_execz .LBB3_925
; %bb.918:                              ;   in Loop: Header=BB3_854 Depth=1
	global_load_dwordx2 v[12:13], v31, s[26:27] offset:32 sc0 sc1
	global_load_dwordx2 v[2:3], v31, s[26:27] offset:40
	v_mov_b32_e32 v10, s16
	v_mov_b32_e32 v11, s17
	s_waitcnt vmcnt(0)
	v_readfirstlane_b32 vcc_lo, v2
	v_readfirstlane_b32 vcc_hi, v3
	s_and_b64 vcc, vcc, s[16:17]
	s_mul_i32 s15, vcc_hi, 24
	s_mul_hi_u32 vcc_hi, vcc_lo, 24
	s_mul_i32 vcc_lo, vcc_lo, 24
	s_add_i32 vcc_hi, vcc_hi, s15
	v_lshl_add_u64 v[8:9], v[24:25], 0, vcc
	global_store_dwordx2 v[8:9], v[12:13], off
	buffer_wbl2 sc0 sc1
	s_waitcnt vmcnt(0)
	global_atomic_cmpswap_x2 v[4:5], v31, v[10:13], s[26:27] offset:32 sc0 sc1
	s_waitcnt vmcnt(0)
	v_cmp_ne_u64_e32 vcc, v[4:5], v[12:13]
	s_and_saveexec_b64 s[30:31], vcc
	s_cbranch_execz .LBB3_921
; %bb.919:                              ;   in Loop: Header=BB3_854 Depth=1
	s_mov_b64 s[34:35], 0
.LBB3_920:                              ;   Parent Loop BB3_854 Depth=1
                                        ; =>  This Inner Loop Header: Depth=2
	s_sleep 1
	global_store_dwordx2 v[8:9], v[4:5], off
	v_mov_b32_e32 v2, s16
	v_mov_b32_e32 v3, s17
	buffer_wbl2 sc0 sc1
	s_waitcnt vmcnt(0)
	global_atomic_cmpswap_x2 v[2:3], v31, v[2:5], s[26:27] offset:32 sc0 sc1
	s_waitcnt vmcnt(0)
	v_cmp_eq_u64_e32 vcc, v[2:3], v[4:5]
	s_or_b64 s[34:35], vcc, s[34:35]
	v_mov_b64_e32 v[4:5], v[2:3]
	s_andn2_b64 exec, exec, s[34:35]
	s_cbranch_execnz .LBB3_920
.LBB3_921:                              ;   in Loop: Header=BB3_854 Depth=1
	s_or_b64 exec, exec, s[30:31]
	global_load_dwordx2 v[2:3], v31, s[26:27] offset:16
	s_mov_b64 s[34:35], exec
	v_mbcnt_lo_u32_b32 v4, s34, 0
	v_mbcnt_hi_u32_b32 v4, s35, v4
	v_cmp_eq_u32_e32 vcc, 0, v4
	s_and_saveexec_b64 s[30:31], vcc
	s_cbranch_execz .LBB3_923
; %bb.922:                              ;   in Loop: Header=BB3_854 Depth=1
	s_bcnt1_i32_b64 s15, s[34:35]
	v_mov_b32_e32 v30, s15
	buffer_wbl2 sc0 sc1
	s_waitcnt vmcnt(0)
	global_atomic_add_x2 v[2:3], v[30:31], off offset:8 sc1
.LBB3_923:                              ;   in Loop: Header=BB3_854 Depth=1
	s_or_b64 exec, exec, s[30:31]
	s_waitcnt vmcnt(0)
	global_load_dwordx2 v[4:5], v[2:3], off offset:16
	s_waitcnt vmcnt(0)
	v_cmp_eq_u64_e32 vcc, 0, v[4:5]
	s_cbranch_vccnz .LBB3_925
; %bb.924:                              ;   in Loop: Header=BB3_854 Depth=1
	global_load_dword v30, v[2:3], off offset:24
	s_waitcnt vmcnt(0)
	v_and_b32_e32 v2, 0xffffff, v30
	s_nop 0
	v_readfirstlane_b32 m0, v2
	buffer_wbl2 sc0 sc1
	global_store_dwordx2 v[4:5], v[30:31], off sc0 sc1
	s_sendmsg sendmsg(MSG_INTERRUPT)
.LBB3_925:                              ;   in Loop: Header=BB3_854 Depth=1
	s_or_b64 exec, exec, s[20:21]
	v_mov_b32_e32 v49, v31
	v_lshl_add_u64 v[2:3], v[26:27], 0, v[48:49]
	s_branch .LBB3_929
.LBB3_926:                              ;   in Loop: Header=BB3_929 Depth=2
	s_or_b64 exec, exec, s[20:21]
	v_readfirstlane_b32 s15, v4
	s_cmp_eq_u32 s15, 0
	s_cbranch_scc1 .LBB3_928
; %bb.927:                              ;   in Loop: Header=BB3_929 Depth=2
	s_sleep 1
	s_cbranch_execnz .LBB3_929
	s_branch .LBB3_931
.LBB3_928:                              ;   in Loop: Header=BB3_854 Depth=1
	s_branch .LBB3_931
.LBB3_929:                              ;   Parent Loop BB3_854 Depth=1
                                        ; =>  This Inner Loop Header: Depth=2
	v_mov_b32_e32 v4, 1
	s_and_saveexec_b64 s[20:21], s[0:1]
	s_cbranch_execz .LBB3_926
; %bb.930:                              ;   in Loop: Header=BB3_929 Depth=2
	global_load_dword v4, v[32:33], off offset:20 sc0 sc1
	s_waitcnt vmcnt(0)
	buffer_inv sc0 sc1
	v_and_b32_e32 v4, 1, v4
	s_branch .LBB3_926
.LBB3_931:                              ;   in Loop: Header=BB3_854 Depth=1
	global_load_dwordx4 v[2:5], v[2:3], off
	s_and_saveexec_b64 s[20:21], s[0:1]
	s_cbranch_execz .LBB3_853
; %bb.932:                              ;   in Loop: Header=BB3_854 Depth=1
	global_load_dwordx2 v[4:5], v31, s[26:27] offset:40
	global_load_dwordx2 v[12:13], v31, s[26:27] offset:24 sc0 sc1
	global_load_dwordx2 v[14:15], v31, s[26:27]
	s_waitcnt vmcnt(2)
	v_lshl_add_u64 v[8:9], v[4:5], 0, 1
	v_lshl_add_u64 v[16:17], v[8:9], 0, s[16:17]
	v_cmp_eq_u64_e32 vcc, 0, v[16:17]
	s_waitcnt vmcnt(1)
	v_mov_b32_e32 v10, v12
	v_cndmask_b32_e32 v9, v17, v9, vcc
	v_cndmask_b32_e32 v8, v16, v8, vcc
	v_and_b32_e32 v5, v9, v5
	v_and_b32_e32 v4, v8, v4
	v_mul_lo_u32 v5, v5, 24
	v_mul_hi_u32 v11, v4, 24
	v_mul_lo_u32 v4, v4, 24
	v_add_u32_e32 v5, v11, v5
	s_waitcnt vmcnt(0)
	v_lshl_add_u64 v[4:5], v[14:15], 0, v[4:5]
	global_store_dwordx2 v[4:5], v[12:13], off
	v_mov_b32_e32 v11, v13
	buffer_wbl2 sc0 sc1
	s_waitcnt vmcnt(0)
	global_atomic_cmpswap_x2 v[10:11], v31, v[8:11], s[26:27] offset:24 sc0 sc1
	s_waitcnt vmcnt(0)
	v_cmp_ne_u64_e32 vcc, v[10:11], v[12:13]
	s_and_b64 exec, exec, vcc
	s_cbranch_execz .LBB3_853
; %bb.933:                              ;   in Loop: Header=BB3_854 Depth=1
	s_mov_b64 s[0:1], 0
.LBB3_934:                              ;   Parent Loop BB3_854 Depth=1
                                        ; =>  This Inner Loop Header: Depth=2
	s_sleep 1
	global_store_dwordx2 v[4:5], v[10:11], off
	buffer_wbl2 sc0 sc1
	s_waitcnt vmcnt(0)
	global_atomic_cmpswap_x2 v[12:13], v31, v[8:11], s[26:27] offset:24 sc0 sc1
	s_waitcnt vmcnt(0)
	v_cmp_eq_u64_e32 vcc, v[12:13], v[10:11]
	s_or_b64 s[0:1], vcc, s[0:1]
	v_mov_b64_e32 v[10:11], v[12:13]
	s_andn2_b64 exec, exec, s[0:1]
	s_cbranch_execnz .LBB3_934
	s_branch .LBB3_853
.LBB3_935:
	s_branch .LBB3_963
.LBB3_936:
                                        ; implicit-def: $vgpr2_vgpr3
	s_cbranch_execz .LBB3_963
; %bb.937:
	v_readfirstlane_b32 s0, v37
	s_waitcnt vmcnt(0)
	v_mov_b64_e32 v[2:3], 0
	v_cmp_eq_u32_e64 s[0:1], s0, v37
	s_and_saveexec_b64 s[4:5], s[0:1]
	s_cbranch_execz .LBB3_943
; %bb.938:
	v_mov_b32_e32 v4, 0
	global_load_dwordx2 v[8:9], v4, s[26:27] offset:24 sc0 sc1
	s_waitcnt vmcnt(0)
	buffer_inv sc0 sc1
	global_load_dwordx2 v[2:3], v4, s[26:27] offset:40
	global_load_dwordx2 v[6:7], v4, s[26:27]
	s_waitcnt vmcnt(1)
	v_and_b32_e32 v2, v2, v8
	v_and_b32_e32 v3, v3, v9
	v_mul_lo_u32 v3, v3, 24
	v_mul_hi_u32 v5, v2, 24
	v_add_u32_e32 v3, v5, v3
	v_mul_lo_u32 v2, v2, 24
	s_waitcnt vmcnt(0)
	v_lshl_add_u64 v[2:3], v[6:7], 0, v[2:3]
	global_load_dwordx2 v[6:7], v[2:3], off sc0 sc1
	s_waitcnt vmcnt(0)
	global_atomic_cmpswap_x2 v[2:3], v4, v[6:9], s[26:27] offset:24 sc0 sc1
	s_waitcnt vmcnt(0)
	buffer_inv sc0 sc1
	v_cmp_ne_u64_e32 vcc, v[2:3], v[8:9]
	s_and_saveexec_b64 s[6:7], vcc
	s_cbranch_execz .LBB3_942
; %bb.939:
	s_mov_b64 s[10:11], 0
.LBB3_940:                              ; =>This Inner Loop Header: Depth=1
	s_sleep 1
	global_load_dwordx2 v[6:7], v4, s[26:27] offset:40
	global_load_dwordx2 v[10:11], v4, s[26:27]
	v_mov_b64_e32 v[8:9], v[2:3]
	s_waitcnt vmcnt(1)
	v_and_b32_e32 v2, v6, v8
	s_waitcnt vmcnt(0)
	v_mad_u64_u32 v[2:3], s[16:17], v2, 24, v[10:11]
	v_and_b32_e32 v5, v7, v9
	v_mov_b32_e32 v6, v3
	v_mad_u64_u32 v[6:7], s[16:17], v5, 24, v[6:7]
	v_mov_b32_e32 v3, v6
	global_load_dwordx2 v[6:7], v[2:3], off sc0 sc1
	s_waitcnt vmcnt(0)
	global_atomic_cmpswap_x2 v[2:3], v4, v[6:9], s[26:27] offset:24 sc0 sc1
	s_waitcnt vmcnt(0)
	buffer_inv sc0 sc1
	v_cmp_eq_u64_e32 vcc, v[2:3], v[8:9]
	s_or_b64 s[10:11], vcc, s[10:11]
	s_andn2_b64 exec, exec, s[10:11]
	s_cbranch_execnz .LBB3_940
; %bb.941:
	s_or_b64 exec, exec, s[10:11]
.LBB3_942:
	s_or_b64 exec, exec, s[6:7]
.LBB3_943:
	s_or_b64 exec, exec, s[4:5]
	v_mov_b32_e32 v49, 0
	global_load_dwordx2 v[8:9], v49, s[26:27] offset:40
	global_load_dwordx4 v[4:7], v49, s[26:27]
	v_readfirstlane_b32 s4, v2
	v_readfirstlane_b32 s5, v3
	s_mov_b64 s[6:7], exec
	s_waitcnt vmcnt(1)
	v_readfirstlane_b32 s10, v8
	v_readfirstlane_b32 s11, v9
	s_and_b64 s[10:11], s[4:5], s[10:11]
	s_mul_i32 s15, s11, 24
	s_mul_hi_u32 s16, s10, 24
	s_add_i32 s17, s16, s15
	s_mul_i32 s16, s10, 24
	s_waitcnt vmcnt(0)
	v_lshl_add_u64 v[8:9], v[4:5], 0, s[16:17]
	s_and_saveexec_b64 s[16:17], s[0:1]
	s_cbranch_execz .LBB3_945
; %bb.944:
	v_mov_b64_e32 v[10:11], s[6:7]
	v_mov_b32_e32 v12, 2
	v_mov_b32_e32 v13, 1
	global_store_dwordx4 v[8:9], v[10:13], off offset:8
.LBB3_945:
	s_or_b64 exec, exec, s[16:17]
	s_lshl_b64 s[6:7], s[10:11], 12
	v_lshl_add_u64 v[6:7], v[6:7], 0, s[6:7]
	s_movk_i32 s6, 0xff1f
	s_mov_b32 s36, 0
	v_and_or_b32 v0, v0, s6, 32
	v_mov_b32_e32 v2, v49
	v_mov_b32_e32 v3, v49
	v_readfirstlane_b32 s6, v6
	v_readfirstlane_b32 s7, v7
	s_mov_b32 s37, s36
	s_mov_b32 s38, s36
	;; [unrolled: 1-line block ×3, first 2 shown]
	s_nop 1
	global_store_dwordx4 v48, v[0:3], s[6:7]
	s_nop 1
	v_mov_b64_e32 v[0:1], s[36:37]
	v_mov_b64_e32 v[2:3], s[38:39]
	global_store_dwordx4 v48, v[0:3], s[6:7] offset:16
	global_store_dwordx4 v48, v[0:3], s[6:7] offset:32
	;; [unrolled: 1-line block ×3, first 2 shown]
	s_and_saveexec_b64 s[6:7], s[0:1]
	s_cbranch_execz .LBB3_953
; %bb.946:
	v_mov_b32_e32 v10, 0
	global_load_dwordx2 v[14:15], v10, s[26:27] offset:32 sc0 sc1
	global_load_dwordx2 v[0:1], v10, s[26:27] offset:40
	v_mov_b32_e32 v12, s4
	v_mov_b32_e32 v13, s5
	s_waitcnt vmcnt(0)
	v_readfirstlane_b32 s10, v0
	v_readfirstlane_b32 s11, v1
	s_and_b64 s[10:11], s[10:11], s[4:5]
	s_mul_i32 s11, s11, 24
	s_mul_hi_u32 s15, s10, 24
	s_mul_i32 s10, s10, 24
	s_add_i32 s11, s15, s11
	v_lshl_add_u64 v[4:5], v[4:5], 0, s[10:11]
	global_store_dwordx2 v[4:5], v[14:15], off
	buffer_wbl2 sc0 sc1
	s_waitcnt vmcnt(0)
	global_atomic_cmpswap_x2 v[2:3], v10, v[12:15], s[26:27] offset:32 sc0 sc1
	s_waitcnt vmcnt(0)
	v_cmp_ne_u64_e32 vcc, v[2:3], v[14:15]
	s_and_saveexec_b64 s[10:11], vcc
	s_cbranch_execz .LBB3_949
; %bb.947:
	s_mov_b64 s[16:17], 0
.LBB3_948:                              ; =>This Inner Loop Header: Depth=1
	s_sleep 1
	global_store_dwordx2 v[4:5], v[2:3], off
	v_mov_b32_e32 v0, s4
	v_mov_b32_e32 v1, s5
	buffer_wbl2 sc0 sc1
	s_waitcnt vmcnt(0)
	global_atomic_cmpswap_x2 v[0:1], v10, v[0:3], s[26:27] offset:32 sc0 sc1
	s_waitcnt vmcnt(0)
	v_cmp_eq_u64_e32 vcc, v[0:1], v[2:3]
	s_or_b64 s[16:17], vcc, s[16:17]
	v_mov_b64_e32 v[2:3], v[0:1]
	s_andn2_b64 exec, exec, s[16:17]
	s_cbranch_execnz .LBB3_948
.LBB3_949:
	s_or_b64 exec, exec, s[10:11]
	v_mov_b32_e32 v3, 0
	global_load_dwordx2 v[0:1], v3, s[26:27] offset:16
	s_mov_b64 s[10:11], exec
	v_mbcnt_lo_u32_b32 v2, s10, 0
	v_mbcnt_hi_u32_b32 v2, s11, v2
	v_cmp_eq_u32_e32 vcc, 0, v2
	s_and_saveexec_b64 s[16:17], vcc
	s_cbranch_execz .LBB3_951
; %bb.950:
	s_bcnt1_i32_b64 s10, s[10:11]
	v_mov_b32_e32 v2, s10
	buffer_wbl2 sc0 sc1
	s_waitcnt vmcnt(0)
	global_atomic_add_x2 v[0:1], v[2:3], off offset:8 sc1
.LBB3_951:
	s_or_b64 exec, exec, s[16:17]
	s_waitcnt vmcnt(0)
	global_load_dwordx2 v[2:3], v[0:1], off offset:16
	s_waitcnt vmcnt(0)
	v_cmp_eq_u64_e32 vcc, 0, v[2:3]
	s_cbranch_vccnz .LBB3_953
; %bb.952:
	global_load_dword v0, v[0:1], off offset:24
	v_mov_b32_e32 v1, 0
	buffer_wbl2 sc0 sc1
	s_waitcnt vmcnt(0)
	global_store_dwordx2 v[2:3], v[0:1], off sc0 sc1
	v_and_b32_e32 v0, 0xffffff, v0
	s_nop 0
	v_readfirstlane_b32 m0, v0
	s_sendmsg sendmsg(MSG_INTERRUPT)
.LBB3_953:
	s_or_b64 exec, exec, s[6:7]
	v_lshl_add_u64 v[0:1], v[6:7], 0, v[48:49]
	s_branch .LBB3_957
.LBB3_954:                              ;   in Loop: Header=BB3_957 Depth=1
	s_or_b64 exec, exec, s[6:7]
	v_readfirstlane_b32 s6, v2
	s_cmp_eq_u32 s6, 0
	s_cbranch_scc1 .LBB3_956
; %bb.955:                              ;   in Loop: Header=BB3_957 Depth=1
	s_sleep 1
	s_cbranch_execnz .LBB3_957
	s_branch .LBB3_959
.LBB3_956:
	s_branch .LBB3_959
.LBB3_957:                              ; =>This Inner Loop Header: Depth=1
	v_mov_b32_e32 v2, 1
	s_and_saveexec_b64 s[6:7], s[0:1]
	s_cbranch_execz .LBB3_954
; %bb.958:                              ;   in Loop: Header=BB3_957 Depth=1
	global_load_dword v2, v[8:9], off offset:20 sc0 sc1
	s_waitcnt vmcnt(0)
	buffer_inv sc0 sc1
	v_and_b32_e32 v2, 1, v2
	s_branch .LBB3_954
.LBB3_959:
	global_load_dwordx2 v[2:3], v[0:1], off
	s_and_saveexec_b64 s[6:7], s[0:1]
	s_cbranch_execz .LBB3_962
; %bb.960:
	v_mov_b32_e32 v8, 0
	global_load_dwordx2 v[0:1], v8, s[26:27] offset:40
	global_load_dwordx2 v[10:11], v8, s[26:27] offset:24 sc0 sc1
	global_load_dwordx2 v[12:13], v8, s[26:27]
	s_mov_b64 s[0:1], 0
	s_waitcnt vmcnt(2)
	v_lshl_add_u64 v[4:5], v[0:1], 0, 1
	v_lshl_add_u64 v[14:15], v[4:5], 0, s[4:5]
	v_cmp_eq_u64_e32 vcc, 0, v[14:15]
	s_waitcnt vmcnt(1)
	v_mov_b32_e32 v6, v10
	v_cndmask_b32_e32 v5, v15, v5, vcc
	v_cndmask_b32_e32 v4, v14, v4, vcc
	v_and_b32_e32 v1, v5, v1
	v_and_b32_e32 v0, v4, v0
	v_mul_lo_u32 v1, v1, 24
	v_mul_hi_u32 v7, v0, 24
	v_mul_lo_u32 v0, v0, 24
	v_add_u32_e32 v1, v7, v1
	s_waitcnt vmcnt(0)
	v_lshl_add_u64 v[0:1], v[12:13], 0, v[0:1]
	global_store_dwordx2 v[0:1], v[10:11], off
	v_mov_b32_e32 v7, v11
	buffer_wbl2 sc0 sc1
	s_waitcnt vmcnt(0)
	global_atomic_cmpswap_x2 v[6:7], v8, v[4:7], s[26:27] offset:24 sc0 sc1
	s_waitcnt vmcnt(0)
	v_cmp_ne_u64_e32 vcc, v[6:7], v[10:11]
	s_and_b64 exec, exec, vcc
	s_cbranch_execz .LBB3_962
.LBB3_961:                              ; =>This Inner Loop Header: Depth=1
	s_sleep 1
	global_store_dwordx2 v[0:1], v[6:7], off
	buffer_wbl2 sc0 sc1
	s_waitcnt vmcnt(0)
	global_atomic_cmpswap_x2 v[10:11], v8, v[4:7], s[26:27] offset:24 sc0 sc1
	s_waitcnt vmcnt(0)
	v_cmp_eq_u64_e32 vcc, v[10:11], v[6:7]
	s_or_b64 s[0:1], vcc, s[0:1]
	v_mov_b64_e32 v[6:7], v[10:11]
	s_andn2_b64 exec, exec, s[0:1]
	s_cbranch_execnz .LBB3_961
.LBB3_962:
	s_or_b64 exec, exec, s[6:7]
.LBB3_963:
	v_readfirstlane_b32 s0, v37
	s_waitcnt vmcnt(0)
	v_mov_b64_e32 v[0:1], 0
	v_cmp_eq_u32_e64 s[0:1], s0, v37
	s_and_saveexec_b64 s[4:5], s[0:1]
	s_cbranch_execz .LBB3_969
; %bb.964:
	v_mov_b32_e32 v4, 0
	global_load_dwordx2 v[8:9], v4, s[26:27] offset:24 sc0 sc1
	s_waitcnt vmcnt(0)
	buffer_inv sc0 sc1
	global_load_dwordx2 v[0:1], v4, s[26:27] offset:40
	global_load_dwordx2 v[6:7], v4, s[26:27]
	s_waitcnt vmcnt(1)
	v_and_b32_e32 v0, v0, v8
	v_and_b32_e32 v1, v1, v9
	v_mul_lo_u32 v1, v1, 24
	v_mul_hi_u32 v5, v0, 24
	v_add_u32_e32 v1, v5, v1
	v_mul_lo_u32 v0, v0, 24
	s_waitcnt vmcnt(0)
	v_lshl_add_u64 v[0:1], v[6:7], 0, v[0:1]
	global_load_dwordx2 v[6:7], v[0:1], off sc0 sc1
	s_waitcnt vmcnt(0)
	global_atomic_cmpswap_x2 v[0:1], v4, v[6:9], s[26:27] offset:24 sc0 sc1
	s_waitcnt vmcnt(0)
	buffer_inv sc0 sc1
	v_cmp_ne_u64_e32 vcc, v[0:1], v[8:9]
	s_and_saveexec_b64 s[6:7], vcc
	s_cbranch_execz .LBB3_968
; %bb.965:
	s_mov_b64 s[10:11], 0
.LBB3_966:                              ; =>This Inner Loop Header: Depth=1
	s_sleep 1
	global_load_dwordx2 v[6:7], v4, s[26:27] offset:40
	global_load_dwordx2 v[10:11], v4, s[26:27]
	v_mov_b64_e32 v[8:9], v[0:1]
	s_waitcnt vmcnt(1)
	v_and_b32_e32 v0, v6, v8
	s_waitcnt vmcnt(0)
	v_mad_u64_u32 v[0:1], s[16:17], v0, 24, v[10:11]
	v_and_b32_e32 v5, v7, v9
	v_mov_b32_e32 v6, v1
	v_mad_u64_u32 v[6:7], s[16:17], v5, 24, v[6:7]
	v_mov_b32_e32 v1, v6
	global_load_dwordx2 v[6:7], v[0:1], off sc0 sc1
	s_waitcnt vmcnt(0)
	global_atomic_cmpswap_x2 v[0:1], v4, v[6:9], s[26:27] offset:24 sc0 sc1
	s_waitcnt vmcnt(0)
	buffer_inv sc0 sc1
	v_cmp_eq_u64_e32 vcc, v[0:1], v[8:9]
	s_or_b64 s[10:11], vcc, s[10:11]
	s_andn2_b64 exec, exec, s[10:11]
	s_cbranch_execnz .LBB3_966
; %bb.967:
	s_or_b64 exec, exec, s[10:11]
.LBB3_968:
	s_or_b64 exec, exec, s[6:7]
.LBB3_969:
	s_or_b64 exec, exec, s[4:5]
	v_mov_b32_e32 v5, 0
	global_load_dwordx2 v[10:11], v5, s[26:27] offset:40
	global_load_dwordx4 v[6:9], v5, s[26:27]
	v_readfirstlane_b32 s4, v0
	v_readfirstlane_b32 s5, v1
	s_mov_b64 s[6:7], exec
	s_waitcnt vmcnt(1)
	v_readfirstlane_b32 s10, v10
	v_readfirstlane_b32 s11, v11
	s_and_b64 s[10:11], s[4:5], s[10:11]
	s_mul_i32 s15, s11, 24
	s_mul_hi_u32 s16, s10, 24
	s_add_i32 s17, s16, s15
	s_mul_i32 s16, s10, 24
	s_waitcnt vmcnt(0)
	v_lshl_add_u64 v[10:11], v[6:7], 0, s[16:17]
	s_and_saveexec_b64 s[16:17], s[0:1]
	s_cbranch_execz .LBB3_971
; %bb.970:
	v_mov_b64_e32 v[12:13], s[6:7]
	v_mov_b32_e32 v14, 2
	v_mov_b32_e32 v15, 1
	global_store_dwordx4 v[10:11], v[12:15], off offset:8
.LBB3_971:
	s_or_b64 exec, exec, s[16:17]
	s_lshl_b64 s[6:7], s[10:11], 12
	v_lshl_add_u64 v[0:1], v[8:9], 0, s[6:7]
	s_movk_i32 s6, 0xff1d
	s_mov_b32 s36, 0
	v_and_or_b32 v2, v2, s6, 34
	v_mov_b32_e32 v4, 0x269
	v_readfirstlane_b32 s6, v0
	v_readfirstlane_b32 s7, v1
	s_mov_b32 s37, s36
	s_mov_b32 s38, s36
	;; [unrolled: 1-line block ×3, first 2 shown]
	s_nop 1
	global_store_dwordx4 v48, v[2:5], s[6:7]
	v_mov_b64_e32 v[0:1], s[36:37]
	s_nop 0
	v_mov_b64_e32 v[2:3], s[38:39]
	global_store_dwordx4 v48, v[0:3], s[6:7] offset:16
	global_store_dwordx4 v48, v[0:3], s[6:7] offset:32
	;; [unrolled: 1-line block ×3, first 2 shown]
	s_and_saveexec_b64 s[6:7], s[0:1]
	s_cbranch_execz .LBB3_979
; %bb.972:
	v_mov_b32_e32 v8, 0
	global_load_dwordx2 v[14:15], v8, s[26:27] offset:32 sc0 sc1
	global_load_dwordx2 v[0:1], v8, s[26:27] offset:40
	v_mov_b32_e32 v12, s4
	v_mov_b32_e32 v13, s5
	s_waitcnt vmcnt(0)
	v_readfirstlane_b32 s10, v0
	v_readfirstlane_b32 s11, v1
	s_and_b64 s[10:11], s[10:11], s[4:5]
	s_mul_i32 s11, s11, 24
	s_mul_hi_u32 s15, s10, 24
	s_mul_i32 s10, s10, 24
	s_add_i32 s11, s15, s11
	v_lshl_add_u64 v[4:5], v[6:7], 0, s[10:11]
	global_store_dwordx2 v[4:5], v[14:15], off
	buffer_wbl2 sc0 sc1
	s_waitcnt vmcnt(0)
	global_atomic_cmpswap_x2 v[2:3], v8, v[12:15], s[26:27] offset:32 sc0 sc1
	s_waitcnt vmcnt(0)
	v_cmp_ne_u64_e32 vcc, v[2:3], v[14:15]
	s_and_saveexec_b64 s[10:11], vcc
	s_cbranch_execz .LBB3_975
; %bb.973:
	s_mov_b64 s[16:17], 0
.LBB3_974:                              ; =>This Inner Loop Header: Depth=1
	s_sleep 1
	global_store_dwordx2 v[4:5], v[2:3], off
	v_mov_b32_e32 v0, s4
	v_mov_b32_e32 v1, s5
	buffer_wbl2 sc0 sc1
	s_waitcnt vmcnt(0)
	global_atomic_cmpswap_x2 v[0:1], v8, v[0:3], s[26:27] offset:32 sc0 sc1
	s_waitcnt vmcnt(0)
	v_cmp_eq_u64_e32 vcc, v[0:1], v[2:3]
	s_or_b64 s[16:17], vcc, s[16:17]
	v_mov_b64_e32 v[2:3], v[0:1]
	s_andn2_b64 exec, exec, s[16:17]
	s_cbranch_execnz .LBB3_974
.LBB3_975:
	s_or_b64 exec, exec, s[10:11]
	v_mov_b32_e32 v3, 0
	global_load_dwordx2 v[0:1], v3, s[26:27] offset:16
	s_mov_b64 s[10:11], exec
	v_mbcnt_lo_u32_b32 v2, s10, 0
	v_mbcnt_hi_u32_b32 v2, s11, v2
	v_cmp_eq_u32_e32 vcc, 0, v2
	s_and_saveexec_b64 s[16:17], vcc
	s_cbranch_execz .LBB3_977
; %bb.976:
	s_bcnt1_i32_b64 s10, s[10:11]
	v_mov_b32_e32 v2, s10
	buffer_wbl2 sc0 sc1
	s_waitcnt vmcnt(0)
	global_atomic_add_x2 v[0:1], v[2:3], off offset:8 sc1
.LBB3_977:
	s_or_b64 exec, exec, s[16:17]
	s_waitcnt vmcnt(0)
	global_load_dwordx2 v[2:3], v[0:1], off offset:16
	s_waitcnt vmcnt(0)
	v_cmp_eq_u64_e32 vcc, 0, v[2:3]
	s_cbranch_vccnz .LBB3_979
; %bb.978:
	global_load_dword v0, v[0:1], off offset:24
	v_mov_b32_e32 v1, 0
	buffer_wbl2 sc0 sc1
	s_waitcnt vmcnt(0)
	global_store_dwordx2 v[2:3], v[0:1], off sc0 sc1
	v_and_b32_e32 v0, 0xffffff, v0
	s_nop 0
	v_readfirstlane_b32 m0, v0
	s_sendmsg sendmsg(MSG_INTERRUPT)
.LBB3_979:
	s_or_b64 exec, exec, s[6:7]
	s_branch .LBB3_983
.LBB3_980:                              ;   in Loop: Header=BB3_983 Depth=1
	s_or_b64 exec, exec, s[6:7]
	v_readfirstlane_b32 s6, v0
	s_cmp_eq_u32 s6, 0
	s_cbranch_scc1 .LBB3_982
; %bb.981:                              ;   in Loop: Header=BB3_983 Depth=1
	s_sleep 1
	s_cbranch_execnz .LBB3_983
	s_branch .LBB3_985
.LBB3_982:
	s_branch .LBB3_985
.LBB3_983:                              ; =>This Inner Loop Header: Depth=1
	v_mov_b32_e32 v0, 1
	s_and_saveexec_b64 s[6:7], s[0:1]
	s_cbranch_execz .LBB3_980
; %bb.984:                              ;   in Loop: Header=BB3_983 Depth=1
	global_load_dword v0, v[10:11], off offset:20 sc0 sc1
	s_waitcnt vmcnt(0)
	buffer_inv sc0 sc1
	v_and_b32_e32 v0, 1, v0
	s_branch .LBB3_980
.LBB3_985:
	s_and_saveexec_b64 s[6:7], s[0:1]
	s_cbranch_execz .LBB3_988
; %bb.986:
	v_mov_b32_e32 v6, 0
	global_load_dwordx2 v[4:5], v6, s[26:27] offset:40
	global_load_dwordx2 v[8:9], v6, s[26:27] offset:24 sc0 sc1
	global_load_dwordx2 v[10:11], v6, s[26:27]
	s_mov_b64 s[0:1], 0
	s_waitcnt vmcnt(2)
	v_lshl_add_u64 v[0:1], v[4:5], 0, 1
	v_lshl_add_u64 v[12:13], v[0:1], 0, s[4:5]
	v_cmp_eq_u64_e32 vcc, 0, v[12:13]
	s_waitcnt vmcnt(1)
	v_mov_b32_e32 v2, v8
	v_cndmask_b32_e32 v1, v13, v1, vcc
	v_cndmask_b32_e32 v0, v12, v0, vcc
	v_and_b32_e32 v3, v1, v5
	v_and_b32_e32 v4, v0, v4
	v_mul_lo_u32 v3, v3, 24
	v_mul_hi_u32 v5, v4, 24
	v_mul_lo_u32 v4, v4, 24
	v_add_u32_e32 v5, v5, v3
	s_waitcnt vmcnt(0)
	v_lshl_add_u64 v[4:5], v[10:11], 0, v[4:5]
	global_store_dwordx2 v[4:5], v[8:9], off
	v_mov_b32_e32 v3, v9
	buffer_wbl2 sc0 sc1
	s_waitcnt vmcnt(0)
	global_atomic_cmpswap_x2 v[2:3], v6, v[0:3], s[26:27] offset:24 sc0 sc1
	s_waitcnt vmcnt(0)
	v_cmp_ne_u64_e32 vcc, v[2:3], v[8:9]
	s_and_b64 exec, exec, vcc
	s_cbranch_execz .LBB3_988
.LBB3_987:                              ; =>This Inner Loop Header: Depth=1
	s_sleep 1
	global_store_dwordx2 v[4:5], v[2:3], off
	buffer_wbl2 sc0 sc1
	s_waitcnt vmcnt(0)
	global_atomic_cmpswap_x2 v[8:9], v6, v[0:3], s[26:27] offset:24 sc0 sc1
	s_waitcnt vmcnt(0)
	v_cmp_eq_u64_e32 vcc, v[8:9], v[2:3]
	s_or_b64 s[0:1], vcc, s[0:1]
	v_mov_b64_e32 v[2:3], v[8:9]
	s_andn2_b64 exec, exec, s[0:1]
	s_cbranch_execnz .LBB3_987
.LBB3_988:
	s_or_b64 exec, exec, s[6:7]
	v_readfirstlane_b32 s0, v37
	v_mov_b64_e32 v[4:5], 0
	s_nop 0
	v_cmp_eq_u32_e64 s[0:1], s0, v37
	s_and_saveexec_b64 s[4:5], s[0:1]
	s_cbranch_execz .LBB3_994
; %bb.989:
	v_mov_b32_e32 v0, 0
	global_load_dwordx2 v[6:7], v0, s[26:27] offset:24 sc0 sc1
	s_waitcnt vmcnt(0)
	buffer_inv sc0 sc1
	global_load_dwordx2 v[2:3], v0, s[26:27] offset:40
	global_load_dwordx2 v[4:5], v0, s[26:27]
	s_waitcnt vmcnt(1)
	v_and_b32_e32 v1, v2, v6
	v_and_b32_e32 v2, v3, v7
	v_mul_lo_u32 v2, v2, 24
	v_mul_hi_u32 v3, v1, 24
	v_add_u32_e32 v3, v3, v2
	v_mul_lo_u32 v2, v1, 24
	s_waitcnt vmcnt(0)
	v_lshl_add_u64 v[2:3], v[4:5], 0, v[2:3]
	global_load_dwordx2 v[4:5], v[2:3], off sc0 sc1
	s_waitcnt vmcnt(0)
	global_atomic_cmpswap_x2 v[4:5], v0, v[4:7], s[26:27] offset:24 sc0 sc1
	s_waitcnt vmcnt(0)
	buffer_inv sc0 sc1
	v_cmp_ne_u64_e32 vcc, v[4:5], v[6:7]
	s_and_saveexec_b64 s[6:7], vcc
	s_cbranch_execz .LBB3_993
; %bb.990:
	s_mov_b64 s[10:11], 0
.LBB3_991:                              ; =>This Inner Loop Header: Depth=1
	s_sleep 1
	global_load_dwordx2 v[2:3], v0, s[26:27] offset:40
	global_load_dwordx2 v[8:9], v0, s[26:27]
	v_mov_b64_e32 v[6:7], v[4:5]
	s_waitcnt vmcnt(1)
	v_and_b32_e32 v2, v2, v6
	v_and_b32_e32 v1, v3, v7
	s_waitcnt vmcnt(0)
	v_mad_u64_u32 v[2:3], s[16:17], v2, 24, v[8:9]
	v_mov_b32_e32 v4, v3
	v_mad_u64_u32 v[4:5], s[16:17], v1, 24, v[4:5]
	v_mov_b32_e32 v3, v4
	global_load_dwordx2 v[4:5], v[2:3], off sc0 sc1
	s_waitcnt vmcnt(0)
	global_atomic_cmpswap_x2 v[4:5], v0, v[4:7], s[26:27] offset:24 sc0 sc1
	s_waitcnt vmcnt(0)
	buffer_inv sc0 sc1
	v_cmp_eq_u64_e32 vcc, v[4:5], v[6:7]
	s_or_b64 s[10:11], vcc, s[10:11]
	s_andn2_b64 exec, exec, s[10:11]
	s_cbranch_execnz .LBB3_991
; %bb.992:
	s_or_b64 exec, exec, s[10:11]
.LBB3_993:
	s_or_b64 exec, exec, s[6:7]
.LBB3_994:
	s_or_b64 exec, exec, s[4:5]
	v_mov_b32_e32 v49, 0
	global_load_dwordx2 v[6:7], v49, s[26:27] offset:40
	global_load_dwordx4 v[0:3], v49, s[26:27]
	v_readfirstlane_b32 s4, v4
	v_readfirstlane_b32 s5, v5
	s_mov_b64 s[6:7], exec
	s_waitcnt vmcnt(1)
	v_readfirstlane_b32 s10, v6
	v_readfirstlane_b32 s11, v7
	s_and_b64 s[10:11], s[4:5], s[10:11]
	s_mul_i32 s15, s11, 24
	s_mul_hi_u32 s16, s10, 24
	s_add_i32 s17, s16, s15
	s_mul_i32 s16, s10, 24
	s_waitcnt vmcnt(0)
	v_lshl_add_u64 v[4:5], v[0:1], 0, s[16:17]
	s_and_saveexec_b64 s[16:17], s[0:1]
	s_cbranch_execz .LBB3_996
; %bb.995:
	v_mov_b64_e32 v[6:7], s[6:7]
	v_mov_b32_e32 v8, 2
	v_mov_b32_e32 v9, 1
	global_store_dwordx4 v[4:5], v[6:9], off offset:8
.LBB3_996:
	s_or_b64 exec, exec, s[16:17]
	s_lshl_b64 s[6:7], s[10:11], 12
	v_lshl_add_u64 v[6:7], v[2:3], 0, s[6:7]
	s_mov_b32 s36, 0
	v_mov_b32_e32 v8, 33
	v_mov_b32_e32 v9, v49
	;; [unrolled: 1-line block ×4, first 2 shown]
	v_readfirstlane_b32 s6, v6
	v_readfirstlane_b32 s7, v7
	s_mov_b32 s37, s36
	s_mov_b32 s38, s36
	;; [unrolled: 1-line block ×3, first 2 shown]
	s_nop 1
	global_store_dwordx4 v48, v[8:11], s[6:7]
	s_nop 1
	v_mov_b64_e32 v[8:9], s[36:37]
	v_mov_b64_e32 v[10:11], s[38:39]
	global_store_dwordx4 v48, v[8:11], s[6:7] offset:16
	global_store_dwordx4 v48, v[8:11], s[6:7] offset:32
	;; [unrolled: 1-line block ×3, first 2 shown]
	s_and_saveexec_b64 s[6:7], s[0:1]
	s_cbranch_execz .LBB3_1004
; %bb.997:
	v_mov_b32_e32 v10, 0
	global_load_dwordx2 v[14:15], v10, s[26:27] offset:32 sc0 sc1
	global_load_dwordx2 v[2:3], v10, s[26:27] offset:40
	v_mov_b32_e32 v12, s4
	v_mov_b32_e32 v13, s5
	s_waitcnt vmcnt(0)
	v_readfirstlane_b32 s10, v2
	v_readfirstlane_b32 s11, v3
	s_and_b64 s[10:11], s[10:11], s[4:5]
	s_mul_i32 s11, s11, 24
	s_mul_hi_u32 s15, s10, 24
	s_mul_i32 s10, s10, 24
	s_add_i32 s11, s15, s11
	v_lshl_add_u64 v[8:9], v[0:1], 0, s[10:11]
	global_store_dwordx2 v[8:9], v[14:15], off
	buffer_wbl2 sc0 sc1
	s_waitcnt vmcnt(0)
	global_atomic_cmpswap_x2 v[2:3], v10, v[12:15], s[26:27] offset:32 sc0 sc1
	s_waitcnt vmcnt(0)
	v_cmp_ne_u64_e32 vcc, v[2:3], v[14:15]
	s_and_saveexec_b64 s[10:11], vcc
	s_cbranch_execz .LBB3_1000
; %bb.998:
	s_mov_b64 s[16:17], 0
.LBB3_999:                              ; =>This Inner Loop Header: Depth=1
	s_sleep 1
	global_store_dwordx2 v[8:9], v[2:3], off
	v_mov_b32_e32 v0, s4
	v_mov_b32_e32 v1, s5
	buffer_wbl2 sc0 sc1
	s_waitcnt vmcnt(0)
	global_atomic_cmpswap_x2 v[0:1], v10, v[0:3], s[26:27] offset:32 sc0 sc1
	s_waitcnt vmcnt(0)
	v_cmp_eq_u64_e32 vcc, v[0:1], v[2:3]
	s_or_b64 s[16:17], vcc, s[16:17]
	v_mov_b64_e32 v[2:3], v[0:1]
	s_andn2_b64 exec, exec, s[16:17]
	s_cbranch_execnz .LBB3_999
.LBB3_1000:
	s_or_b64 exec, exec, s[10:11]
	v_mov_b32_e32 v3, 0
	global_load_dwordx2 v[0:1], v3, s[26:27] offset:16
	s_mov_b64 s[10:11], exec
	v_mbcnt_lo_u32_b32 v2, s10, 0
	v_mbcnt_hi_u32_b32 v2, s11, v2
	v_cmp_eq_u32_e32 vcc, 0, v2
	s_and_saveexec_b64 s[16:17], vcc
	s_cbranch_execz .LBB3_1002
; %bb.1001:
	s_bcnt1_i32_b64 s10, s[10:11]
	v_mov_b32_e32 v2, s10
	buffer_wbl2 sc0 sc1
	s_waitcnt vmcnt(0)
	global_atomic_add_x2 v[0:1], v[2:3], off offset:8 sc1
.LBB3_1002:
	s_or_b64 exec, exec, s[16:17]
	s_waitcnt vmcnt(0)
	global_load_dwordx2 v[2:3], v[0:1], off offset:16
	s_waitcnt vmcnt(0)
	v_cmp_eq_u64_e32 vcc, 0, v[2:3]
	s_cbranch_vccnz .LBB3_1004
; %bb.1003:
	global_load_dword v0, v[0:1], off offset:24
	v_mov_b32_e32 v1, 0
	buffer_wbl2 sc0 sc1
	s_waitcnt vmcnt(0)
	global_store_dwordx2 v[2:3], v[0:1], off sc0 sc1
	v_and_b32_e32 v0, 0xffffff, v0
	s_nop 0
	v_readfirstlane_b32 m0, v0
	s_sendmsg sendmsg(MSG_INTERRUPT)
.LBB3_1004:
	s_or_b64 exec, exec, s[6:7]
	v_lshl_add_u64 v[0:1], v[6:7], 0, v[48:49]
	s_branch .LBB3_1008
.LBB3_1005:                             ;   in Loop: Header=BB3_1008 Depth=1
	s_or_b64 exec, exec, s[6:7]
	v_readfirstlane_b32 s6, v2
	s_cmp_eq_u32 s6, 0
	s_cbranch_scc1 .LBB3_1007
; %bb.1006:                             ;   in Loop: Header=BB3_1008 Depth=1
	s_sleep 1
	s_cbranch_execnz .LBB3_1008
	s_branch .LBB3_1010
.LBB3_1007:
	s_branch .LBB3_1010
.LBB3_1008:                             ; =>This Inner Loop Header: Depth=1
	v_mov_b32_e32 v2, 1
	s_and_saveexec_b64 s[6:7], s[0:1]
	s_cbranch_execz .LBB3_1005
; %bb.1009:                             ;   in Loop: Header=BB3_1008 Depth=1
	global_load_dword v2, v[4:5], off offset:20 sc0 sc1
	s_waitcnt vmcnt(0)
	buffer_inv sc0 sc1
	v_and_b32_e32 v2, 1, v2
	s_branch .LBB3_1005
.LBB3_1010:
	global_load_dwordx2 v[0:1], v[0:1], off
	s_and_saveexec_b64 s[6:7], s[0:1]
	s_cbranch_execz .LBB3_1013
; %bb.1011:
	v_mov_b32_e32 v8, 0
	global_load_dwordx2 v[6:7], v8, s[26:27] offset:40
	global_load_dwordx2 v[10:11], v8, s[26:27] offset:24 sc0 sc1
	global_load_dwordx2 v[12:13], v8, s[26:27]
	s_mov_b64 s[0:1], 0
	s_waitcnt vmcnt(2)
	v_lshl_add_u64 v[2:3], v[6:7], 0, 1
	v_lshl_add_u64 v[14:15], v[2:3], 0, s[4:5]
	v_cmp_eq_u64_e32 vcc, 0, v[14:15]
	s_waitcnt vmcnt(1)
	v_mov_b32_e32 v4, v10
	v_cndmask_b32_e32 v3, v15, v3, vcc
	v_cndmask_b32_e32 v2, v14, v2, vcc
	v_and_b32_e32 v5, v3, v7
	v_and_b32_e32 v6, v2, v6
	v_mul_lo_u32 v5, v5, 24
	v_mul_hi_u32 v7, v6, 24
	v_mul_lo_u32 v6, v6, 24
	v_add_u32_e32 v7, v7, v5
	s_waitcnt vmcnt(0)
	v_lshl_add_u64 v[6:7], v[12:13], 0, v[6:7]
	global_store_dwordx2 v[6:7], v[10:11], off
	v_mov_b32_e32 v5, v11
	buffer_wbl2 sc0 sc1
	s_waitcnt vmcnt(0)
	global_atomic_cmpswap_x2 v[4:5], v8, v[2:5], s[26:27] offset:24 sc0 sc1
	s_waitcnt vmcnt(0)
	v_cmp_ne_u64_e32 vcc, v[4:5], v[10:11]
	s_and_b64 exec, exec, vcc
	s_cbranch_execz .LBB3_1013
.LBB3_1012:                             ; =>This Inner Loop Header: Depth=1
	s_sleep 1
	global_store_dwordx2 v[6:7], v[4:5], off
	buffer_wbl2 sc0 sc1
	s_waitcnt vmcnt(0)
	global_atomic_cmpswap_x2 v[10:11], v8, v[2:5], s[26:27] offset:24 sc0 sc1
	s_waitcnt vmcnt(0)
	v_cmp_eq_u64_e32 vcc, v[10:11], v[4:5]
	s_or_b64 s[0:1], vcc, s[0:1]
	v_mov_b64_e32 v[4:5], v[10:11]
	s_andn2_b64 exec, exec, s[0:1]
	s_cbranch_execnz .LBB3_1012
.LBB3_1013:
	s_or_b64 exec, exec, s[6:7]
	s_and_b64 vcc, exec, s[28:29]
	s_cbranch_vccz .LBB3_1098
; %bb.1014:
	s_waitcnt vmcnt(0)
	v_and_b32_e32 v28, 2, v0
	v_mov_b32_e32 v31, 0
	v_and_b32_e32 v2, -3, v0
	v_mov_b32_e32 v3, v1
	s_mov_b64 s[6:7], 3
	v_mov_b32_e32 v6, 2
	v_mov_b32_e32 v7, 1
	s_getpc_b64 s[4:5]
	s_add_u32 s4, s4, .str.6@rel32@lo+4
	s_addc_u32 s5, s5, .str.6@rel32@hi+12
	s_branch .LBB3_1016
.LBB3_1015:                             ;   in Loop: Header=BB3_1016 Depth=1
	s_or_b64 exec, exec, s[20:21]
	s_sub_u32 s6, s6, s10
	s_subb_u32 s7, s7, s11
	s_add_u32 s4, s4, s10
	s_addc_u32 s5, s5, s11
	s_cmp_lg_u64 s[6:7], 0
	s_cbranch_scc0 .LBB3_1097
.LBB3_1016:                             ; =>This Loop Header: Depth=1
                                        ;     Child Loop BB3_1019 Depth 2
                                        ;     Child Loop BB3_1026 Depth 2
	;; [unrolled: 1-line block ×11, first 2 shown]
	v_cmp_lt_u64_e64 s[0:1], s[6:7], 56
	s_and_b64 s[0:1], s[0:1], exec
	v_cmp_gt_u64_e64 s[0:1], s[6:7], 7
	s_cselect_b32 s11, s7, 0
	s_cselect_b32 s10, s6, 56
	s_and_b64 vcc, exec, s[0:1]
	s_cbranch_vccnz .LBB3_1021
; %bb.1017:                             ;   in Loop: Header=BB3_1016 Depth=1
	s_mov_b64 s[0:1], 0
	s_cmp_eq_u64 s[6:7], 0
	v_mov_b64_e32 v[10:11], 0
	s_cbranch_scc1 .LBB3_1020
; %bb.1018:                             ;   in Loop: Header=BB3_1016 Depth=1
	s_lshl_b64 s[16:17], s[10:11], 3
	s_mov_b64 s[20:21], 0
	v_mov_b64_e32 v[10:11], 0
	s_mov_b64 vcc, s[4:5]
.LBB3_1019:                             ;   Parent Loop BB3_1016 Depth=1
                                        ; =>  This Inner Loop Header: Depth=2
	global_load_ubyte v4, v31, vcc
	s_waitcnt vmcnt(0)
	v_and_b32_e32 v30, 0xffff, v4
	v_lshlrev_b64 v[4:5], s20, v[30:31]
	s_add_u32 s20, s20, 8
	s_addc_u32 s21, s21, 0
	s_add_u32 vcc_lo, vcc_lo, 1
	s_addc_u32 vcc_hi, vcc_hi, 0
	v_or_b32_e32 v10, v4, v10
	s_cmp_lg_u32 s16, s20
	v_or_b32_e32 v11, v5, v11
	s_cbranch_scc1 .LBB3_1019
.LBB3_1020:                             ;   in Loop: Header=BB3_1016 Depth=1
	s_mov_b32 s15, 0
	s_andn2_b64 vcc, exec, s[0:1]
	s_mov_b64 s[0:1], s[4:5]
	s_cbranch_vccz .LBB3_1022
	s_branch .LBB3_1023
.LBB3_1021:                             ;   in Loop: Header=BB3_1016 Depth=1
                                        ; implicit-def: $vgpr10_vgpr11
                                        ; implicit-def: $sgpr15
	s_mov_b64 s[0:1], s[4:5]
.LBB3_1022:                             ;   in Loop: Header=BB3_1016 Depth=1
	global_load_dwordx2 v[10:11], v31, s[4:5]
	s_add_i32 s15, s10, -8
	s_add_u32 s0, s4, 8
	s_addc_u32 s1, s5, 0
.LBB3_1023:                             ;   in Loop: Header=BB3_1016 Depth=1
	s_cmp_gt_u32 s15, 7
	s_cbranch_scc1 .LBB3_1027
; %bb.1024:                             ;   in Loop: Header=BB3_1016 Depth=1
	s_cmp_eq_u32 s15, 0
	s_cbranch_scc1 .LBB3_1028
; %bb.1025:                             ;   in Loop: Header=BB3_1016 Depth=1
	s_mov_b64 s[16:17], 0
	v_mov_b64_e32 v[12:13], 0
	s_mov_b64 s[20:21], 0
.LBB3_1026:                             ;   Parent Loop BB3_1016 Depth=1
                                        ; =>  This Inner Loop Header: Depth=2
	s_add_u32 vcc_lo, s0, s20
	s_addc_u32 vcc_hi, s1, s21
	global_load_ubyte v4, v31, vcc
	s_add_u32 s20, s20, 1
	s_addc_u32 s21, s21, 0
	s_waitcnt vmcnt(0)
	v_and_b32_e32 v30, 0xffff, v4
	v_lshlrev_b64 v[4:5], s16, v[30:31]
	s_add_u32 s16, s16, 8
	s_addc_u32 s17, s17, 0
	v_or_b32_e32 v12, v4, v12
	s_cmp_lg_u32 s15, s20
	v_or_b32_e32 v13, v5, v13
	s_cbranch_scc1 .LBB3_1026
	s_branch .LBB3_1029
.LBB3_1027:                             ;   in Loop: Header=BB3_1016 Depth=1
                                        ; implicit-def: $vgpr12_vgpr13
                                        ; implicit-def: $sgpr30
	s_branch .LBB3_1030
.LBB3_1028:                             ;   in Loop: Header=BB3_1016 Depth=1
	v_mov_b64_e32 v[12:13], 0
.LBB3_1029:                             ;   in Loop: Header=BB3_1016 Depth=1
	s_mov_b32 s30, 0
	s_cbranch_execnz .LBB3_1031
.LBB3_1030:                             ;   in Loop: Header=BB3_1016 Depth=1
	global_load_dwordx2 v[12:13], v31, s[0:1]
	s_add_i32 s30, s15, -8
	s_add_u32 s0, s0, 8
	s_addc_u32 s1, s1, 0
.LBB3_1031:                             ;   in Loop: Header=BB3_1016 Depth=1
	s_cmp_gt_u32 s30, 7
	s_cbranch_scc1 .LBB3_1035
; %bb.1032:                             ;   in Loop: Header=BB3_1016 Depth=1
	s_cmp_eq_u32 s30, 0
	s_cbranch_scc1 .LBB3_1036
; %bb.1033:                             ;   in Loop: Header=BB3_1016 Depth=1
	s_mov_b64 s[16:17], 0
	v_mov_b64_e32 v[14:15], 0
	s_mov_b64 s[20:21], 0
.LBB3_1034:                             ;   Parent Loop BB3_1016 Depth=1
                                        ; =>  This Inner Loop Header: Depth=2
	s_add_u32 vcc_lo, s0, s20
	s_addc_u32 vcc_hi, s1, s21
	global_load_ubyte v4, v31, vcc
	s_add_u32 s20, s20, 1
	s_addc_u32 s21, s21, 0
	s_waitcnt vmcnt(0)
	v_and_b32_e32 v30, 0xffff, v4
	v_lshlrev_b64 v[4:5], s16, v[30:31]
	s_add_u32 s16, s16, 8
	s_addc_u32 s17, s17, 0
	v_or_b32_e32 v14, v4, v14
	s_cmp_lg_u32 s30, s20
	v_or_b32_e32 v15, v5, v15
	s_cbranch_scc1 .LBB3_1034
	s_branch .LBB3_1037
.LBB3_1035:                             ;   in Loop: Header=BB3_1016 Depth=1
                                        ; implicit-def: $sgpr15
	s_branch .LBB3_1038
.LBB3_1036:                             ;   in Loop: Header=BB3_1016 Depth=1
	v_mov_b64_e32 v[14:15], 0
.LBB3_1037:                             ;   in Loop: Header=BB3_1016 Depth=1
	s_mov_b32 s15, 0
	s_cbranch_execnz .LBB3_1039
.LBB3_1038:                             ;   in Loop: Header=BB3_1016 Depth=1
	global_load_dwordx2 v[14:15], v31, s[0:1]
	s_add_i32 s15, s30, -8
	s_add_u32 s0, s0, 8
	s_addc_u32 s1, s1, 0
.LBB3_1039:                             ;   in Loop: Header=BB3_1016 Depth=1
	s_cmp_gt_u32 s15, 7
	s_cbranch_scc1 .LBB3_1043
; %bb.1040:                             ;   in Loop: Header=BB3_1016 Depth=1
	s_cmp_eq_u32 s15, 0
	s_cbranch_scc1 .LBB3_1044
; %bb.1041:                             ;   in Loop: Header=BB3_1016 Depth=1
	s_mov_b64 s[16:17], 0
	v_mov_b64_e32 v[16:17], 0
	s_mov_b64 s[20:21], 0
.LBB3_1042:                             ;   Parent Loop BB3_1016 Depth=1
                                        ; =>  This Inner Loop Header: Depth=2
	s_add_u32 vcc_lo, s0, s20
	s_addc_u32 vcc_hi, s1, s21
	global_load_ubyte v4, v31, vcc
	s_add_u32 s20, s20, 1
	s_addc_u32 s21, s21, 0
	s_waitcnt vmcnt(0)
	v_and_b32_e32 v30, 0xffff, v4
	v_lshlrev_b64 v[4:5], s16, v[30:31]
	s_add_u32 s16, s16, 8
	s_addc_u32 s17, s17, 0
	v_or_b32_e32 v16, v4, v16
	s_cmp_lg_u32 s15, s20
	v_or_b32_e32 v17, v5, v17
	s_cbranch_scc1 .LBB3_1042
	s_branch .LBB3_1045
.LBB3_1043:                             ;   in Loop: Header=BB3_1016 Depth=1
                                        ; implicit-def: $vgpr16_vgpr17
                                        ; implicit-def: $sgpr30
	s_branch .LBB3_1046
.LBB3_1044:                             ;   in Loop: Header=BB3_1016 Depth=1
	v_mov_b64_e32 v[16:17], 0
.LBB3_1045:                             ;   in Loop: Header=BB3_1016 Depth=1
	s_mov_b32 s30, 0
	s_cbranch_execnz .LBB3_1047
.LBB3_1046:                             ;   in Loop: Header=BB3_1016 Depth=1
	global_load_dwordx2 v[16:17], v31, s[0:1]
	s_add_i32 s30, s15, -8
	s_add_u32 s0, s0, 8
	s_addc_u32 s1, s1, 0
.LBB3_1047:                             ;   in Loop: Header=BB3_1016 Depth=1
	s_cmp_gt_u32 s30, 7
	s_cbranch_scc1 .LBB3_1051
; %bb.1048:                             ;   in Loop: Header=BB3_1016 Depth=1
	s_cmp_eq_u32 s30, 0
	s_cbranch_scc1 .LBB3_1052
; %bb.1049:                             ;   in Loop: Header=BB3_1016 Depth=1
	s_mov_b64 s[16:17], 0
	v_mov_b64_e32 v[18:19], 0
	s_mov_b64 s[20:21], 0
.LBB3_1050:                             ;   Parent Loop BB3_1016 Depth=1
                                        ; =>  This Inner Loop Header: Depth=2
	s_add_u32 vcc_lo, s0, s20
	s_addc_u32 vcc_hi, s1, s21
	global_load_ubyte v4, v31, vcc
	s_add_u32 s20, s20, 1
	s_addc_u32 s21, s21, 0
	s_waitcnt vmcnt(0)
	v_and_b32_e32 v30, 0xffff, v4
	v_lshlrev_b64 v[4:5], s16, v[30:31]
	s_add_u32 s16, s16, 8
	s_addc_u32 s17, s17, 0
	v_or_b32_e32 v18, v4, v18
	s_cmp_lg_u32 s30, s20
	v_or_b32_e32 v19, v5, v19
	s_cbranch_scc1 .LBB3_1050
	s_branch .LBB3_1053
.LBB3_1051:                             ;   in Loop: Header=BB3_1016 Depth=1
                                        ; implicit-def: $sgpr15
	s_branch .LBB3_1054
.LBB3_1052:                             ;   in Loop: Header=BB3_1016 Depth=1
	v_mov_b64_e32 v[18:19], 0
.LBB3_1053:                             ;   in Loop: Header=BB3_1016 Depth=1
	s_mov_b32 s15, 0
	s_cbranch_execnz .LBB3_1055
.LBB3_1054:                             ;   in Loop: Header=BB3_1016 Depth=1
	global_load_dwordx2 v[18:19], v31, s[0:1]
	s_add_i32 s15, s30, -8
	s_add_u32 s0, s0, 8
	s_addc_u32 s1, s1, 0
.LBB3_1055:                             ;   in Loop: Header=BB3_1016 Depth=1
	s_cmp_gt_u32 s15, 7
	s_cbranch_scc1 .LBB3_1059
; %bb.1056:                             ;   in Loop: Header=BB3_1016 Depth=1
	s_cmp_eq_u32 s15, 0
	s_cbranch_scc1 .LBB3_1060
; %bb.1057:                             ;   in Loop: Header=BB3_1016 Depth=1
	s_mov_b64 s[16:17], 0
	v_mov_b64_e32 v[20:21], 0
	s_mov_b64 s[20:21], 0
.LBB3_1058:                             ;   Parent Loop BB3_1016 Depth=1
                                        ; =>  This Inner Loop Header: Depth=2
	s_add_u32 vcc_lo, s0, s20
	s_addc_u32 vcc_hi, s1, s21
	global_load_ubyte v4, v31, vcc
	s_add_u32 s20, s20, 1
	s_addc_u32 s21, s21, 0
	s_waitcnt vmcnt(0)
	v_and_b32_e32 v30, 0xffff, v4
	v_lshlrev_b64 v[4:5], s16, v[30:31]
	s_add_u32 s16, s16, 8
	s_addc_u32 s17, s17, 0
	v_or_b32_e32 v20, v4, v20
	s_cmp_lg_u32 s15, s20
	v_or_b32_e32 v21, v5, v21
	s_cbranch_scc1 .LBB3_1058
	s_branch .LBB3_1061
.LBB3_1059:                             ;   in Loop: Header=BB3_1016 Depth=1
                                        ; implicit-def: $vgpr20_vgpr21
                                        ; implicit-def: $sgpr30
	s_branch .LBB3_1062
.LBB3_1060:                             ;   in Loop: Header=BB3_1016 Depth=1
	v_mov_b64_e32 v[20:21], 0
.LBB3_1061:                             ;   in Loop: Header=BB3_1016 Depth=1
	s_mov_b32 s30, 0
	s_cbranch_execnz .LBB3_1063
.LBB3_1062:                             ;   in Loop: Header=BB3_1016 Depth=1
	global_load_dwordx2 v[20:21], v31, s[0:1]
	s_add_i32 s30, s15, -8
	s_add_u32 s0, s0, 8
	s_addc_u32 s1, s1, 0
.LBB3_1063:                             ;   in Loop: Header=BB3_1016 Depth=1
	s_cmp_gt_u32 s30, 7
	s_cbranch_scc1 .LBB3_1067
; %bb.1064:                             ;   in Loop: Header=BB3_1016 Depth=1
	s_cmp_eq_u32 s30, 0
	s_cbranch_scc1 .LBB3_1068
; %bb.1065:                             ;   in Loop: Header=BB3_1016 Depth=1
	s_mov_b64 s[16:17], 0
	v_mov_b64_e32 v[22:23], 0
	s_mov_b64 s[20:21], s[0:1]
.LBB3_1066:                             ;   Parent Loop BB3_1016 Depth=1
                                        ; =>  This Inner Loop Header: Depth=2
	global_load_ubyte v4, v31, s[20:21]
	s_add_i32 s30, s30, -1
	s_waitcnt vmcnt(0)
	v_and_b32_e32 v30, 0xffff, v4
	v_lshlrev_b64 v[4:5], s16, v[30:31]
	s_add_u32 s16, s16, 8
	s_addc_u32 s17, s17, 0
	s_add_u32 s20, s20, 1
	s_addc_u32 s21, s21, 0
	v_or_b32_e32 v22, v4, v22
	s_cmp_lg_u32 s30, 0
	v_or_b32_e32 v23, v5, v23
	s_cbranch_scc1 .LBB3_1066
	s_branch .LBB3_1069
.LBB3_1067:                             ;   in Loop: Header=BB3_1016 Depth=1
	s_branch .LBB3_1070
.LBB3_1068:                             ;   in Loop: Header=BB3_1016 Depth=1
	v_mov_b64_e32 v[22:23], 0
.LBB3_1069:                             ;   in Loop: Header=BB3_1016 Depth=1
	s_cbranch_execnz .LBB3_1071
.LBB3_1070:                             ;   in Loop: Header=BB3_1016 Depth=1
	global_load_dwordx2 v[22:23], v31, s[0:1]
.LBB3_1071:                             ;   in Loop: Header=BB3_1016 Depth=1
	v_readfirstlane_b32 s0, v37
	s_waitcnt vmcnt(0)
	v_mov_b64_e32 v[4:5], 0
	v_cmp_eq_u32_e64 s[0:1], s0, v37
	s_and_saveexec_b64 s[16:17], s[0:1]
	s_cbranch_execz .LBB3_1077
; %bb.1072:                             ;   in Loop: Header=BB3_1016 Depth=1
	global_load_dwordx2 v[26:27], v31, s[26:27] offset:24 sc0 sc1
	s_waitcnt vmcnt(0)
	buffer_inv sc0 sc1
	global_load_dwordx2 v[4:5], v31, s[26:27] offset:40
	global_load_dwordx2 v[8:9], v31, s[26:27]
	s_waitcnt vmcnt(1)
	v_and_b32_e32 v4, v4, v26
	v_and_b32_e32 v5, v5, v27
	v_mul_lo_u32 v5, v5, 24
	v_mul_hi_u32 v24, v4, 24
	v_add_u32_e32 v5, v24, v5
	v_mul_lo_u32 v4, v4, 24
	s_waitcnt vmcnt(0)
	v_lshl_add_u64 v[4:5], v[8:9], 0, v[4:5]
	global_load_dwordx2 v[24:25], v[4:5], off sc0 sc1
	s_waitcnt vmcnt(0)
	global_atomic_cmpswap_x2 v[4:5], v31, v[24:27], s[26:27] offset:24 sc0 sc1
	s_waitcnt vmcnt(0)
	buffer_inv sc0 sc1
	v_cmp_ne_u64_e32 vcc, v[4:5], v[26:27]
	s_and_saveexec_b64 s[20:21], vcc
	s_cbranch_execz .LBB3_1076
; %bb.1073:                             ;   in Loop: Header=BB3_1016 Depth=1
	s_mov_b64 s[30:31], 0
.LBB3_1074:                             ;   Parent Loop BB3_1016 Depth=1
                                        ; =>  This Inner Loop Header: Depth=2
	s_sleep 1
	global_load_dwordx2 v[8:9], v31, s[26:27] offset:40
	global_load_dwordx2 v[24:25], v31, s[26:27]
	v_mov_b64_e32 v[26:27], v[4:5]
	s_waitcnt vmcnt(1)
	v_and_b32_e32 v4, v8, v26
	s_waitcnt vmcnt(0)
	v_mad_u64_u32 v[4:5], vcc, v4, 24, v[24:25]
	v_and_b32_e32 v9, v9, v27
	v_mov_b32_e32 v8, v5
	v_mad_u64_u32 v[8:9], vcc, v9, 24, v[8:9]
	v_mov_b32_e32 v5, v8
	global_load_dwordx2 v[24:25], v[4:5], off sc0 sc1
	s_waitcnt vmcnt(0)
	global_atomic_cmpswap_x2 v[4:5], v31, v[24:27], s[26:27] offset:24 sc0 sc1
	s_waitcnt vmcnt(0)
	buffer_inv sc0 sc1
	v_cmp_eq_u64_e32 vcc, v[4:5], v[26:27]
	s_or_b64 s[30:31], vcc, s[30:31]
	s_andn2_b64 exec, exec, s[30:31]
	s_cbranch_execnz .LBB3_1074
; %bb.1075:                             ;   in Loop: Header=BB3_1016 Depth=1
	s_or_b64 exec, exec, s[30:31]
.LBB3_1076:                             ;   in Loop: Header=BB3_1016 Depth=1
	s_or_b64 exec, exec, s[20:21]
.LBB3_1077:                             ;   in Loop: Header=BB3_1016 Depth=1
	s_or_b64 exec, exec, s[16:17]
	global_load_dwordx2 v[8:9], v31, s[26:27] offset:40
	global_load_dwordx4 v[24:27], v31, s[26:27]
	v_readfirstlane_b32 s16, v4
	v_readfirstlane_b32 s17, v5
	s_mov_b64 s[20:21], exec
	s_waitcnt vmcnt(1)
	v_readfirstlane_b32 vcc_lo, v8
	v_readfirstlane_b32 vcc_hi, v9
	s_and_b64 vcc, s[16:17], vcc
	s_mul_i32 s15, vcc_hi, 24
	s_mul_hi_u32 s30, vcc_lo, 24
	s_add_i32 s31, s30, s15
	s_mul_i32 s30, vcc_lo, 24
	s_waitcnt vmcnt(0)
	v_lshl_add_u64 v[32:33], v[24:25], 0, s[30:31]
	s_and_saveexec_b64 s[30:31], s[0:1]
	s_cbranch_execz .LBB3_1079
; %bb.1078:                             ;   in Loop: Header=BB3_1016 Depth=1
	v_mov_b64_e32 v[4:5], s[20:21]
	global_store_dwordx4 v[32:33], v[4:7], off offset:8
.LBB3_1079:                             ;   in Loop: Header=BB3_1016 Depth=1
	s_or_b64 exec, exec, s[30:31]
	s_lshl_b64 s[20:21], vcc, 12
	v_or_b32_e32 v5, v2, v28
	v_cmp_gt_u64_e64 vcc, s[6:7], 56
	s_lshl_b32 s15, s10, 2
	s_add_i32 s15, s15, 28
	v_cndmask_b32_e32 v2, v5, v2, vcc
	v_lshl_add_u64 v[26:27], v[26:27], 0, s[20:21]
	v_or_b32_e32 v4, 0, v3
	s_and_b32 s15, s15, 0x1e0
	v_and_b32_e32 v2, 0xffffff1f, v2
	v_cndmask_b32_e32 v9, v4, v3, vcc
	v_or_b32_e32 v8, s15, v2
	v_readfirstlane_b32 s20, v26
	v_readfirstlane_b32 s21, v27
	s_nop 4
	global_store_dwordx4 v48, v[8:11], s[20:21]
	global_store_dwordx4 v48, v[12:15], s[20:21] offset:16
	global_store_dwordx4 v48, v[16:19], s[20:21] offset:32
	;; [unrolled: 1-line block ×3, first 2 shown]
	s_and_saveexec_b64 s[20:21], s[0:1]
	s_cbranch_execz .LBB3_1087
; %bb.1080:                             ;   in Loop: Header=BB3_1016 Depth=1
	global_load_dwordx2 v[12:13], v31, s[26:27] offset:32 sc0 sc1
	global_load_dwordx2 v[2:3], v31, s[26:27] offset:40
	v_mov_b32_e32 v10, s16
	v_mov_b32_e32 v11, s17
	s_waitcnt vmcnt(0)
	v_readfirstlane_b32 vcc_lo, v2
	v_readfirstlane_b32 vcc_hi, v3
	s_and_b64 vcc, vcc, s[16:17]
	s_mul_i32 s15, vcc_hi, 24
	s_mul_hi_u32 vcc_hi, vcc_lo, 24
	s_mul_i32 vcc_lo, vcc_lo, 24
	s_add_i32 vcc_hi, vcc_hi, s15
	v_lshl_add_u64 v[8:9], v[24:25], 0, vcc
	global_store_dwordx2 v[8:9], v[12:13], off
	buffer_wbl2 sc0 sc1
	s_waitcnt vmcnt(0)
	global_atomic_cmpswap_x2 v[4:5], v31, v[10:13], s[26:27] offset:32 sc0 sc1
	s_waitcnt vmcnt(0)
	v_cmp_ne_u64_e32 vcc, v[4:5], v[12:13]
	s_and_saveexec_b64 s[30:31], vcc
	s_cbranch_execz .LBB3_1083
; %bb.1081:                             ;   in Loop: Header=BB3_1016 Depth=1
	s_mov_b64 s[34:35], 0
.LBB3_1082:                             ;   Parent Loop BB3_1016 Depth=1
                                        ; =>  This Inner Loop Header: Depth=2
	s_sleep 1
	global_store_dwordx2 v[8:9], v[4:5], off
	v_mov_b32_e32 v2, s16
	v_mov_b32_e32 v3, s17
	buffer_wbl2 sc0 sc1
	s_waitcnt vmcnt(0)
	global_atomic_cmpswap_x2 v[2:3], v31, v[2:5], s[26:27] offset:32 sc0 sc1
	s_waitcnt vmcnt(0)
	v_cmp_eq_u64_e32 vcc, v[2:3], v[4:5]
	s_or_b64 s[34:35], vcc, s[34:35]
	v_mov_b64_e32 v[4:5], v[2:3]
	s_andn2_b64 exec, exec, s[34:35]
	s_cbranch_execnz .LBB3_1082
.LBB3_1083:                             ;   in Loop: Header=BB3_1016 Depth=1
	s_or_b64 exec, exec, s[30:31]
	global_load_dwordx2 v[2:3], v31, s[26:27] offset:16
	s_mov_b64 s[34:35], exec
	v_mbcnt_lo_u32_b32 v4, s34, 0
	v_mbcnt_hi_u32_b32 v4, s35, v4
	v_cmp_eq_u32_e32 vcc, 0, v4
	s_and_saveexec_b64 s[30:31], vcc
	s_cbranch_execz .LBB3_1085
; %bb.1084:                             ;   in Loop: Header=BB3_1016 Depth=1
	s_bcnt1_i32_b64 s15, s[34:35]
	v_mov_b32_e32 v30, s15
	buffer_wbl2 sc0 sc1
	s_waitcnt vmcnt(0)
	global_atomic_add_x2 v[2:3], v[30:31], off offset:8 sc1
.LBB3_1085:                             ;   in Loop: Header=BB3_1016 Depth=1
	s_or_b64 exec, exec, s[30:31]
	s_waitcnt vmcnt(0)
	global_load_dwordx2 v[4:5], v[2:3], off offset:16
	s_waitcnt vmcnt(0)
	v_cmp_eq_u64_e32 vcc, 0, v[4:5]
	s_cbranch_vccnz .LBB3_1087
; %bb.1086:                             ;   in Loop: Header=BB3_1016 Depth=1
	global_load_dword v30, v[2:3], off offset:24
	s_waitcnt vmcnt(0)
	v_and_b32_e32 v2, 0xffffff, v30
	s_nop 0
	v_readfirstlane_b32 m0, v2
	buffer_wbl2 sc0 sc1
	global_store_dwordx2 v[4:5], v[30:31], off sc0 sc1
	s_sendmsg sendmsg(MSG_INTERRUPT)
.LBB3_1087:                             ;   in Loop: Header=BB3_1016 Depth=1
	s_or_b64 exec, exec, s[20:21]
	v_mov_b32_e32 v49, v31
	v_lshl_add_u64 v[2:3], v[26:27], 0, v[48:49]
	s_branch .LBB3_1091
.LBB3_1088:                             ;   in Loop: Header=BB3_1091 Depth=2
	s_or_b64 exec, exec, s[20:21]
	v_readfirstlane_b32 s15, v4
	s_cmp_eq_u32 s15, 0
	s_cbranch_scc1 .LBB3_1090
; %bb.1089:                             ;   in Loop: Header=BB3_1091 Depth=2
	s_sleep 1
	s_cbranch_execnz .LBB3_1091
	s_branch .LBB3_1093
.LBB3_1090:                             ;   in Loop: Header=BB3_1016 Depth=1
	s_branch .LBB3_1093
.LBB3_1091:                             ;   Parent Loop BB3_1016 Depth=1
                                        ; =>  This Inner Loop Header: Depth=2
	v_mov_b32_e32 v4, 1
	s_and_saveexec_b64 s[20:21], s[0:1]
	s_cbranch_execz .LBB3_1088
; %bb.1092:                             ;   in Loop: Header=BB3_1091 Depth=2
	global_load_dword v4, v[32:33], off offset:20 sc0 sc1
	s_waitcnt vmcnt(0)
	buffer_inv sc0 sc1
	v_and_b32_e32 v4, 1, v4
	s_branch .LBB3_1088
.LBB3_1093:                             ;   in Loop: Header=BB3_1016 Depth=1
	global_load_dwordx4 v[2:5], v[2:3], off
	s_and_saveexec_b64 s[20:21], s[0:1]
	s_cbranch_execz .LBB3_1015
; %bb.1094:                             ;   in Loop: Header=BB3_1016 Depth=1
	global_load_dwordx2 v[4:5], v31, s[26:27] offset:40
	global_load_dwordx2 v[12:13], v31, s[26:27] offset:24 sc0 sc1
	global_load_dwordx2 v[14:15], v31, s[26:27]
	s_waitcnt vmcnt(2)
	v_lshl_add_u64 v[8:9], v[4:5], 0, 1
	v_lshl_add_u64 v[16:17], v[8:9], 0, s[16:17]
	v_cmp_eq_u64_e32 vcc, 0, v[16:17]
	s_waitcnt vmcnt(1)
	v_mov_b32_e32 v10, v12
	v_cndmask_b32_e32 v9, v17, v9, vcc
	v_cndmask_b32_e32 v8, v16, v8, vcc
	v_and_b32_e32 v5, v9, v5
	v_and_b32_e32 v4, v8, v4
	v_mul_lo_u32 v5, v5, 24
	v_mul_hi_u32 v11, v4, 24
	v_mul_lo_u32 v4, v4, 24
	v_add_u32_e32 v5, v11, v5
	s_waitcnt vmcnt(0)
	v_lshl_add_u64 v[4:5], v[14:15], 0, v[4:5]
	global_store_dwordx2 v[4:5], v[12:13], off
	v_mov_b32_e32 v11, v13
	buffer_wbl2 sc0 sc1
	s_waitcnt vmcnt(0)
	global_atomic_cmpswap_x2 v[10:11], v31, v[8:11], s[26:27] offset:24 sc0 sc1
	s_waitcnt vmcnt(0)
	v_cmp_ne_u64_e32 vcc, v[10:11], v[12:13]
	s_and_b64 exec, exec, vcc
	s_cbranch_execz .LBB3_1015
; %bb.1095:                             ;   in Loop: Header=BB3_1016 Depth=1
	s_mov_b64 s[0:1], 0
.LBB3_1096:                             ;   Parent Loop BB3_1016 Depth=1
                                        ; =>  This Inner Loop Header: Depth=2
	s_sleep 1
	global_store_dwordx2 v[4:5], v[10:11], off
	buffer_wbl2 sc0 sc1
	s_waitcnt vmcnt(0)
	global_atomic_cmpswap_x2 v[12:13], v31, v[8:11], s[26:27] offset:24 sc0 sc1
	s_waitcnt vmcnt(0)
	v_cmp_eq_u64_e32 vcc, v[12:13], v[10:11]
	s_or_b64 s[0:1], vcc, s[0:1]
	v_mov_b64_e32 v[10:11], v[12:13]
	s_andn2_b64 exec, exec, s[0:1]
	s_cbranch_execnz .LBB3_1096
	s_branch .LBB3_1015
.LBB3_1097:
	s_branch .LBB3_1125
.LBB3_1098:
                                        ; implicit-def: $vgpr2_vgpr3
	s_cbranch_execz .LBB3_1125
; %bb.1099:
	v_readfirstlane_b32 s0, v37
	s_waitcnt vmcnt(0)
	v_mov_b64_e32 v[2:3], 0
	v_cmp_eq_u32_e64 s[0:1], s0, v37
	s_and_saveexec_b64 s[4:5], s[0:1]
	s_cbranch_execz .LBB3_1105
; %bb.1100:
	v_mov_b32_e32 v4, 0
	global_load_dwordx2 v[8:9], v4, s[26:27] offset:24 sc0 sc1
	s_waitcnt vmcnt(0)
	buffer_inv sc0 sc1
	global_load_dwordx2 v[2:3], v4, s[26:27] offset:40
	global_load_dwordx2 v[6:7], v4, s[26:27]
	s_waitcnt vmcnt(1)
	v_and_b32_e32 v2, v2, v8
	v_and_b32_e32 v3, v3, v9
	v_mul_lo_u32 v3, v3, 24
	v_mul_hi_u32 v5, v2, 24
	v_add_u32_e32 v3, v5, v3
	v_mul_lo_u32 v2, v2, 24
	s_waitcnt vmcnt(0)
	v_lshl_add_u64 v[2:3], v[6:7], 0, v[2:3]
	global_load_dwordx2 v[6:7], v[2:3], off sc0 sc1
	s_waitcnt vmcnt(0)
	global_atomic_cmpswap_x2 v[2:3], v4, v[6:9], s[26:27] offset:24 sc0 sc1
	s_waitcnt vmcnt(0)
	buffer_inv sc0 sc1
	v_cmp_ne_u64_e32 vcc, v[2:3], v[8:9]
	s_and_saveexec_b64 s[6:7], vcc
	s_cbranch_execz .LBB3_1104
; %bb.1101:
	s_mov_b64 s[10:11], 0
.LBB3_1102:                             ; =>This Inner Loop Header: Depth=1
	s_sleep 1
	global_load_dwordx2 v[6:7], v4, s[26:27] offset:40
	global_load_dwordx2 v[10:11], v4, s[26:27]
	v_mov_b64_e32 v[8:9], v[2:3]
	s_waitcnt vmcnt(1)
	v_and_b32_e32 v2, v6, v8
	s_waitcnt vmcnt(0)
	v_mad_u64_u32 v[2:3], s[16:17], v2, 24, v[10:11]
	v_and_b32_e32 v5, v7, v9
	v_mov_b32_e32 v6, v3
	v_mad_u64_u32 v[6:7], s[16:17], v5, 24, v[6:7]
	v_mov_b32_e32 v3, v6
	global_load_dwordx2 v[6:7], v[2:3], off sc0 sc1
	s_waitcnt vmcnt(0)
	global_atomic_cmpswap_x2 v[2:3], v4, v[6:9], s[26:27] offset:24 sc0 sc1
	s_waitcnt vmcnt(0)
	buffer_inv sc0 sc1
	v_cmp_eq_u64_e32 vcc, v[2:3], v[8:9]
	s_or_b64 s[10:11], vcc, s[10:11]
	s_andn2_b64 exec, exec, s[10:11]
	s_cbranch_execnz .LBB3_1102
; %bb.1103:
	s_or_b64 exec, exec, s[10:11]
.LBB3_1104:
	s_or_b64 exec, exec, s[6:7]
.LBB3_1105:
	s_or_b64 exec, exec, s[4:5]
	v_mov_b32_e32 v49, 0
	global_load_dwordx2 v[8:9], v49, s[26:27] offset:40
	global_load_dwordx4 v[4:7], v49, s[26:27]
	v_readfirstlane_b32 s4, v2
	v_readfirstlane_b32 s5, v3
	s_mov_b64 s[6:7], exec
	s_waitcnt vmcnt(1)
	v_readfirstlane_b32 s10, v8
	v_readfirstlane_b32 s11, v9
	s_and_b64 s[10:11], s[4:5], s[10:11]
	s_mul_i32 s15, s11, 24
	s_mul_hi_u32 s16, s10, 24
	s_add_i32 s17, s16, s15
	s_mul_i32 s16, s10, 24
	s_waitcnt vmcnt(0)
	v_lshl_add_u64 v[8:9], v[4:5], 0, s[16:17]
	s_and_saveexec_b64 s[16:17], s[0:1]
	s_cbranch_execz .LBB3_1107
; %bb.1106:
	v_mov_b64_e32 v[10:11], s[6:7]
	v_mov_b32_e32 v12, 2
	v_mov_b32_e32 v13, 1
	global_store_dwordx4 v[8:9], v[10:13], off offset:8
.LBB3_1107:
	s_or_b64 exec, exec, s[16:17]
	s_lshl_b64 s[6:7], s[10:11], 12
	v_lshl_add_u64 v[6:7], v[6:7], 0, s[6:7]
	s_movk_i32 s6, 0xff1f
	s_mov_b32 s36, 0
	v_and_or_b32 v0, v0, s6, 32
	v_mov_b32_e32 v2, v49
	v_mov_b32_e32 v3, v49
	v_readfirstlane_b32 s6, v6
	v_readfirstlane_b32 s7, v7
	s_mov_b32 s37, s36
	s_mov_b32 s38, s36
	;; [unrolled: 1-line block ×3, first 2 shown]
	s_nop 1
	global_store_dwordx4 v48, v[0:3], s[6:7]
	s_nop 1
	v_mov_b64_e32 v[0:1], s[36:37]
	v_mov_b64_e32 v[2:3], s[38:39]
	global_store_dwordx4 v48, v[0:3], s[6:7] offset:16
	global_store_dwordx4 v48, v[0:3], s[6:7] offset:32
	;; [unrolled: 1-line block ×3, first 2 shown]
	s_and_saveexec_b64 s[6:7], s[0:1]
	s_cbranch_execz .LBB3_1115
; %bb.1108:
	v_mov_b32_e32 v10, 0
	global_load_dwordx2 v[14:15], v10, s[26:27] offset:32 sc0 sc1
	global_load_dwordx2 v[0:1], v10, s[26:27] offset:40
	v_mov_b32_e32 v12, s4
	v_mov_b32_e32 v13, s5
	s_waitcnt vmcnt(0)
	v_readfirstlane_b32 s10, v0
	v_readfirstlane_b32 s11, v1
	s_and_b64 s[10:11], s[10:11], s[4:5]
	s_mul_i32 s11, s11, 24
	s_mul_hi_u32 s15, s10, 24
	s_mul_i32 s10, s10, 24
	s_add_i32 s11, s15, s11
	v_lshl_add_u64 v[4:5], v[4:5], 0, s[10:11]
	global_store_dwordx2 v[4:5], v[14:15], off
	buffer_wbl2 sc0 sc1
	s_waitcnt vmcnt(0)
	global_atomic_cmpswap_x2 v[2:3], v10, v[12:15], s[26:27] offset:32 sc0 sc1
	s_waitcnt vmcnt(0)
	v_cmp_ne_u64_e32 vcc, v[2:3], v[14:15]
	s_and_saveexec_b64 s[10:11], vcc
	s_cbranch_execz .LBB3_1111
; %bb.1109:
	s_mov_b64 s[16:17], 0
.LBB3_1110:                             ; =>This Inner Loop Header: Depth=1
	s_sleep 1
	global_store_dwordx2 v[4:5], v[2:3], off
	v_mov_b32_e32 v0, s4
	v_mov_b32_e32 v1, s5
	buffer_wbl2 sc0 sc1
	s_waitcnt vmcnt(0)
	global_atomic_cmpswap_x2 v[0:1], v10, v[0:3], s[26:27] offset:32 sc0 sc1
	s_waitcnt vmcnt(0)
	v_cmp_eq_u64_e32 vcc, v[0:1], v[2:3]
	s_or_b64 s[16:17], vcc, s[16:17]
	v_mov_b64_e32 v[2:3], v[0:1]
	s_andn2_b64 exec, exec, s[16:17]
	s_cbranch_execnz .LBB3_1110
.LBB3_1111:
	s_or_b64 exec, exec, s[10:11]
	v_mov_b32_e32 v3, 0
	global_load_dwordx2 v[0:1], v3, s[26:27] offset:16
	s_mov_b64 s[10:11], exec
	v_mbcnt_lo_u32_b32 v2, s10, 0
	v_mbcnt_hi_u32_b32 v2, s11, v2
	v_cmp_eq_u32_e32 vcc, 0, v2
	s_and_saveexec_b64 s[16:17], vcc
	s_cbranch_execz .LBB3_1113
; %bb.1112:
	s_bcnt1_i32_b64 s10, s[10:11]
	v_mov_b32_e32 v2, s10
	buffer_wbl2 sc0 sc1
	s_waitcnt vmcnt(0)
	global_atomic_add_x2 v[0:1], v[2:3], off offset:8 sc1
.LBB3_1113:
	s_or_b64 exec, exec, s[16:17]
	s_waitcnt vmcnt(0)
	global_load_dwordx2 v[2:3], v[0:1], off offset:16
	s_waitcnt vmcnt(0)
	v_cmp_eq_u64_e32 vcc, 0, v[2:3]
	s_cbranch_vccnz .LBB3_1115
; %bb.1114:
	global_load_dword v0, v[0:1], off offset:24
	v_mov_b32_e32 v1, 0
	buffer_wbl2 sc0 sc1
	s_waitcnt vmcnt(0)
	global_store_dwordx2 v[2:3], v[0:1], off sc0 sc1
	v_and_b32_e32 v0, 0xffffff, v0
	s_nop 0
	v_readfirstlane_b32 m0, v0
	s_sendmsg sendmsg(MSG_INTERRUPT)
.LBB3_1115:
	s_or_b64 exec, exec, s[6:7]
	v_lshl_add_u64 v[0:1], v[6:7], 0, v[48:49]
	s_branch .LBB3_1119
.LBB3_1116:                             ;   in Loop: Header=BB3_1119 Depth=1
	s_or_b64 exec, exec, s[6:7]
	v_readfirstlane_b32 s6, v2
	s_cmp_eq_u32 s6, 0
	s_cbranch_scc1 .LBB3_1118
; %bb.1117:                             ;   in Loop: Header=BB3_1119 Depth=1
	s_sleep 1
	s_cbranch_execnz .LBB3_1119
	s_branch .LBB3_1121
.LBB3_1118:
	s_branch .LBB3_1121
.LBB3_1119:                             ; =>This Inner Loop Header: Depth=1
	v_mov_b32_e32 v2, 1
	s_and_saveexec_b64 s[6:7], s[0:1]
	s_cbranch_execz .LBB3_1116
; %bb.1120:                             ;   in Loop: Header=BB3_1119 Depth=1
	global_load_dword v2, v[8:9], off offset:20 sc0 sc1
	s_waitcnt vmcnt(0)
	buffer_inv sc0 sc1
	v_and_b32_e32 v2, 1, v2
	s_branch .LBB3_1116
.LBB3_1121:
	global_load_dwordx2 v[2:3], v[0:1], off
	s_and_saveexec_b64 s[6:7], s[0:1]
	s_cbranch_execz .LBB3_1124
; %bb.1122:
	v_mov_b32_e32 v8, 0
	global_load_dwordx2 v[0:1], v8, s[26:27] offset:40
	global_load_dwordx2 v[10:11], v8, s[26:27] offset:24 sc0 sc1
	global_load_dwordx2 v[12:13], v8, s[26:27]
	s_mov_b64 s[0:1], 0
	s_waitcnt vmcnt(2)
	v_lshl_add_u64 v[4:5], v[0:1], 0, 1
	v_lshl_add_u64 v[14:15], v[4:5], 0, s[4:5]
	v_cmp_eq_u64_e32 vcc, 0, v[14:15]
	s_waitcnt vmcnt(1)
	v_mov_b32_e32 v6, v10
	v_cndmask_b32_e32 v5, v15, v5, vcc
	v_cndmask_b32_e32 v4, v14, v4, vcc
	v_and_b32_e32 v1, v5, v1
	v_and_b32_e32 v0, v4, v0
	v_mul_lo_u32 v1, v1, 24
	v_mul_hi_u32 v7, v0, 24
	v_mul_lo_u32 v0, v0, 24
	v_add_u32_e32 v1, v7, v1
	s_waitcnt vmcnt(0)
	v_lshl_add_u64 v[0:1], v[12:13], 0, v[0:1]
	global_store_dwordx2 v[0:1], v[10:11], off
	v_mov_b32_e32 v7, v11
	buffer_wbl2 sc0 sc1
	s_waitcnt vmcnt(0)
	global_atomic_cmpswap_x2 v[6:7], v8, v[4:7], s[26:27] offset:24 sc0 sc1
	s_waitcnt vmcnt(0)
	v_cmp_ne_u64_e32 vcc, v[6:7], v[10:11]
	s_and_b64 exec, exec, vcc
	s_cbranch_execz .LBB3_1124
.LBB3_1123:                             ; =>This Inner Loop Header: Depth=1
	s_sleep 1
	global_store_dwordx2 v[0:1], v[6:7], off
	buffer_wbl2 sc0 sc1
	s_waitcnt vmcnt(0)
	global_atomic_cmpswap_x2 v[10:11], v8, v[4:7], s[26:27] offset:24 sc0 sc1
	s_waitcnt vmcnt(0)
	v_cmp_eq_u64_e32 vcc, v[10:11], v[6:7]
	s_or_b64 s[0:1], vcc, s[0:1]
	v_mov_b64_e32 v[6:7], v[10:11]
	s_andn2_b64 exec, exec, s[0:1]
	s_cbranch_execnz .LBB3_1123
.LBB3_1124:
	s_or_b64 exec, exec, s[6:7]
.LBB3_1125:
	v_readfirstlane_b32 s0, v37
	s_waitcnt vmcnt(0)
	v_mov_b64_e32 v[0:1], 0
	v_cmp_eq_u32_e64 s[0:1], s0, v37
	s_and_saveexec_b64 s[4:5], s[0:1]
	s_cbranch_execz .LBB3_1131
; %bb.1126:
	v_mov_b32_e32 v4, 0
	global_load_dwordx2 v[8:9], v4, s[26:27] offset:24 sc0 sc1
	s_waitcnt vmcnt(0)
	buffer_inv sc0 sc1
	global_load_dwordx2 v[0:1], v4, s[26:27] offset:40
	global_load_dwordx2 v[6:7], v4, s[26:27]
	s_waitcnt vmcnt(1)
	v_and_b32_e32 v0, v0, v8
	v_and_b32_e32 v1, v1, v9
	v_mul_lo_u32 v1, v1, 24
	v_mul_hi_u32 v5, v0, 24
	v_add_u32_e32 v1, v5, v1
	v_mul_lo_u32 v0, v0, 24
	s_waitcnt vmcnt(0)
	v_lshl_add_u64 v[0:1], v[6:7], 0, v[0:1]
	global_load_dwordx2 v[6:7], v[0:1], off sc0 sc1
	s_waitcnt vmcnt(0)
	global_atomic_cmpswap_x2 v[0:1], v4, v[6:9], s[26:27] offset:24 sc0 sc1
	s_waitcnt vmcnt(0)
	buffer_inv sc0 sc1
	v_cmp_ne_u64_e32 vcc, v[0:1], v[8:9]
	s_and_saveexec_b64 s[6:7], vcc
	s_cbranch_execz .LBB3_1130
; %bb.1127:
	s_mov_b64 s[10:11], 0
.LBB3_1128:                             ; =>This Inner Loop Header: Depth=1
	s_sleep 1
	global_load_dwordx2 v[6:7], v4, s[26:27] offset:40
	global_load_dwordx2 v[10:11], v4, s[26:27]
	v_mov_b64_e32 v[8:9], v[0:1]
	s_waitcnt vmcnt(1)
	v_and_b32_e32 v0, v6, v8
	s_waitcnt vmcnt(0)
	v_mad_u64_u32 v[0:1], s[16:17], v0, 24, v[10:11]
	v_and_b32_e32 v5, v7, v9
	v_mov_b32_e32 v6, v1
	v_mad_u64_u32 v[6:7], s[16:17], v5, 24, v[6:7]
	v_mov_b32_e32 v1, v6
	global_load_dwordx2 v[6:7], v[0:1], off sc0 sc1
	s_waitcnt vmcnt(0)
	global_atomic_cmpswap_x2 v[0:1], v4, v[6:9], s[26:27] offset:24 sc0 sc1
	s_waitcnt vmcnt(0)
	buffer_inv sc0 sc1
	v_cmp_eq_u64_e32 vcc, v[0:1], v[8:9]
	s_or_b64 s[10:11], vcc, s[10:11]
	s_andn2_b64 exec, exec, s[10:11]
	s_cbranch_execnz .LBB3_1128
; %bb.1129:
	s_or_b64 exec, exec, s[10:11]
.LBB3_1130:
	s_or_b64 exec, exec, s[6:7]
.LBB3_1131:
	s_or_b64 exec, exec, s[4:5]
	v_mov_b32_e32 v5, 0
	global_load_dwordx2 v[10:11], v5, s[26:27] offset:40
	global_load_dwordx4 v[6:9], v5, s[26:27]
	v_readfirstlane_b32 s4, v0
	v_readfirstlane_b32 s5, v1
	s_mov_b64 s[6:7], exec
	s_waitcnt vmcnt(1)
	v_readfirstlane_b32 s10, v10
	v_readfirstlane_b32 s11, v11
	s_and_b64 s[10:11], s[4:5], s[10:11]
	s_mul_i32 s15, s11, 24
	s_mul_hi_u32 s16, s10, 24
	s_add_i32 s17, s16, s15
	s_mul_i32 s16, s10, 24
	s_waitcnt vmcnt(0)
	v_lshl_add_u64 v[10:11], v[6:7], 0, s[16:17]
	s_and_saveexec_b64 s[16:17], s[0:1]
	s_cbranch_execz .LBB3_1133
; %bb.1132:
	v_mov_b64_e32 v[12:13], s[6:7]
	v_mov_b32_e32 v14, 2
	v_mov_b32_e32 v15, 1
	global_store_dwordx4 v[10:11], v[12:15], off offset:8
.LBB3_1133:
	s_or_b64 exec, exec, s[16:17]
	s_lshl_b64 s[6:7], s[10:11], 12
	v_lshl_add_u64 v[0:1], v[8:9], 0, s[6:7]
	s_movk_i32 s6, 0xff1d
	s_mov_b32 s36, 0
	v_and_or_b32 v2, v2, s6, 34
	v_mov_b32_e32 v4, 58
	v_readfirstlane_b32 s6, v0
	v_readfirstlane_b32 s7, v1
	s_mov_b32 s37, s36
	s_mov_b32 s38, s36
	;; [unrolled: 1-line block ×3, first 2 shown]
	s_nop 1
	global_store_dwordx4 v48, v[2:5], s[6:7]
	v_mov_b64_e32 v[0:1], s[36:37]
	s_nop 0
	v_mov_b64_e32 v[2:3], s[38:39]
	global_store_dwordx4 v48, v[0:3], s[6:7] offset:16
	global_store_dwordx4 v48, v[0:3], s[6:7] offset:32
	;; [unrolled: 1-line block ×3, first 2 shown]
	s_and_saveexec_b64 s[6:7], s[0:1]
	s_cbranch_execz .LBB3_1141
; %bb.1134:
	v_mov_b32_e32 v8, 0
	global_load_dwordx2 v[14:15], v8, s[26:27] offset:32 sc0 sc1
	global_load_dwordx2 v[0:1], v8, s[26:27] offset:40
	v_mov_b32_e32 v12, s4
	v_mov_b32_e32 v13, s5
	s_waitcnt vmcnt(0)
	v_readfirstlane_b32 s10, v0
	v_readfirstlane_b32 s11, v1
	s_and_b64 s[10:11], s[10:11], s[4:5]
	s_mul_i32 s11, s11, 24
	s_mul_hi_u32 s15, s10, 24
	s_mul_i32 s10, s10, 24
	s_add_i32 s11, s15, s11
	v_lshl_add_u64 v[4:5], v[6:7], 0, s[10:11]
	global_store_dwordx2 v[4:5], v[14:15], off
	buffer_wbl2 sc0 sc1
	s_waitcnt vmcnt(0)
	global_atomic_cmpswap_x2 v[2:3], v8, v[12:15], s[26:27] offset:32 sc0 sc1
	s_waitcnt vmcnt(0)
	v_cmp_ne_u64_e32 vcc, v[2:3], v[14:15]
	s_and_saveexec_b64 s[10:11], vcc
	s_cbranch_execz .LBB3_1137
; %bb.1135:
	s_mov_b64 s[16:17], 0
.LBB3_1136:                             ; =>This Inner Loop Header: Depth=1
	s_sleep 1
	global_store_dwordx2 v[4:5], v[2:3], off
	v_mov_b32_e32 v0, s4
	v_mov_b32_e32 v1, s5
	buffer_wbl2 sc0 sc1
	s_waitcnt vmcnt(0)
	global_atomic_cmpswap_x2 v[0:1], v8, v[0:3], s[26:27] offset:32 sc0 sc1
	s_waitcnt vmcnt(0)
	v_cmp_eq_u64_e32 vcc, v[0:1], v[2:3]
	s_or_b64 s[16:17], vcc, s[16:17]
	v_mov_b64_e32 v[2:3], v[0:1]
	s_andn2_b64 exec, exec, s[16:17]
	s_cbranch_execnz .LBB3_1136
.LBB3_1137:
	s_or_b64 exec, exec, s[10:11]
	v_mov_b32_e32 v3, 0
	global_load_dwordx2 v[0:1], v3, s[26:27] offset:16
	s_mov_b64 s[10:11], exec
	v_mbcnt_lo_u32_b32 v2, s10, 0
	v_mbcnt_hi_u32_b32 v2, s11, v2
	v_cmp_eq_u32_e32 vcc, 0, v2
	s_and_saveexec_b64 s[16:17], vcc
	s_cbranch_execz .LBB3_1139
; %bb.1138:
	s_bcnt1_i32_b64 s10, s[10:11]
	v_mov_b32_e32 v2, s10
	buffer_wbl2 sc0 sc1
	s_waitcnt vmcnt(0)
	global_atomic_add_x2 v[0:1], v[2:3], off offset:8 sc1
.LBB3_1139:
	s_or_b64 exec, exec, s[16:17]
	s_waitcnt vmcnt(0)
	global_load_dwordx2 v[2:3], v[0:1], off offset:16
	s_waitcnt vmcnt(0)
	v_cmp_eq_u64_e32 vcc, 0, v[2:3]
	s_cbranch_vccnz .LBB3_1141
; %bb.1140:
	global_load_dword v0, v[0:1], off offset:24
	v_mov_b32_e32 v1, 0
	buffer_wbl2 sc0 sc1
	s_waitcnt vmcnt(0)
	global_store_dwordx2 v[2:3], v[0:1], off sc0 sc1
	v_and_b32_e32 v0, 0xffffff, v0
	s_nop 0
	v_readfirstlane_b32 m0, v0
	s_sendmsg sendmsg(MSG_INTERRUPT)
.LBB3_1141:
	s_or_b64 exec, exec, s[6:7]
	s_branch .LBB3_1145
.LBB3_1142:                             ;   in Loop: Header=BB3_1145 Depth=1
	s_or_b64 exec, exec, s[6:7]
	v_readfirstlane_b32 s6, v0
	s_cmp_eq_u32 s6, 0
	s_cbranch_scc1 .LBB3_1144
; %bb.1143:                             ;   in Loop: Header=BB3_1145 Depth=1
	s_sleep 1
	s_cbranch_execnz .LBB3_1145
	s_branch .LBB3_1147
.LBB3_1144:
	s_branch .LBB3_1147
.LBB3_1145:                             ; =>This Inner Loop Header: Depth=1
	v_mov_b32_e32 v0, 1
	s_and_saveexec_b64 s[6:7], s[0:1]
	s_cbranch_execz .LBB3_1142
; %bb.1146:                             ;   in Loop: Header=BB3_1145 Depth=1
	global_load_dword v0, v[10:11], off offset:20 sc0 sc1
	s_waitcnt vmcnt(0)
	buffer_inv sc0 sc1
	v_and_b32_e32 v0, 1, v0
	s_branch .LBB3_1142
.LBB3_1147:
	s_and_saveexec_b64 s[6:7], s[0:1]
	s_cbranch_execz .LBB3_1150
; %bb.1148:
	v_mov_b32_e32 v6, 0
	global_load_dwordx2 v[4:5], v6, s[26:27] offset:40
	global_load_dwordx2 v[8:9], v6, s[26:27] offset:24 sc0 sc1
	global_load_dwordx2 v[10:11], v6, s[26:27]
	s_mov_b64 s[0:1], 0
	s_waitcnt vmcnt(2)
	v_lshl_add_u64 v[0:1], v[4:5], 0, 1
	v_lshl_add_u64 v[12:13], v[0:1], 0, s[4:5]
	v_cmp_eq_u64_e32 vcc, 0, v[12:13]
	s_waitcnt vmcnt(1)
	v_mov_b32_e32 v2, v8
	v_cndmask_b32_e32 v1, v13, v1, vcc
	v_cndmask_b32_e32 v0, v12, v0, vcc
	v_and_b32_e32 v3, v1, v5
	v_and_b32_e32 v4, v0, v4
	v_mul_lo_u32 v3, v3, 24
	v_mul_hi_u32 v5, v4, 24
	v_mul_lo_u32 v4, v4, 24
	v_add_u32_e32 v5, v5, v3
	s_waitcnt vmcnt(0)
	v_lshl_add_u64 v[4:5], v[10:11], 0, v[4:5]
	global_store_dwordx2 v[4:5], v[8:9], off
	v_mov_b32_e32 v3, v9
	buffer_wbl2 sc0 sc1
	s_waitcnt vmcnt(0)
	global_atomic_cmpswap_x2 v[2:3], v6, v[0:3], s[26:27] offset:24 sc0 sc1
	s_waitcnt vmcnt(0)
	v_cmp_ne_u64_e32 vcc, v[2:3], v[8:9]
	s_and_b64 exec, exec, vcc
	s_cbranch_execz .LBB3_1150
.LBB3_1149:                             ; =>This Inner Loop Header: Depth=1
	s_sleep 1
	global_store_dwordx2 v[4:5], v[2:3], off
	buffer_wbl2 sc0 sc1
	s_waitcnt vmcnt(0)
	global_atomic_cmpswap_x2 v[8:9], v6, v[0:3], s[26:27] offset:24 sc0 sc1
	s_waitcnt vmcnt(0)
	v_cmp_eq_u64_e32 vcc, v[8:9], v[2:3]
	s_or_b64 s[0:1], vcc, s[0:1]
	v_mov_b64_e32 v[2:3], v[8:9]
	s_andn2_b64 exec, exec, s[0:1]
	s_cbranch_execnz .LBB3_1149
.LBB3_1150:
	s_or_b64 exec, exec, s[6:7]
	v_readfirstlane_b32 s0, v37
	v_mov_b64_e32 v[4:5], 0
	s_nop 0
	v_cmp_eq_u32_e64 s[0:1], s0, v37
	s_and_saveexec_b64 s[4:5], s[0:1]
	s_cbranch_execz .LBB3_1156
; %bb.1151:
	v_mov_b32_e32 v0, 0
	global_load_dwordx2 v[6:7], v0, s[26:27] offset:24 sc0 sc1
	s_waitcnt vmcnt(0)
	buffer_inv sc0 sc1
	global_load_dwordx2 v[2:3], v0, s[26:27] offset:40
	global_load_dwordx2 v[4:5], v0, s[26:27]
	s_waitcnt vmcnt(1)
	v_and_b32_e32 v1, v2, v6
	v_and_b32_e32 v2, v3, v7
	v_mul_lo_u32 v2, v2, 24
	v_mul_hi_u32 v3, v1, 24
	v_add_u32_e32 v3, v3, v2
	v_mul_lo_u32 v2, v1, 24
	s_waitcnt vmcnt(0)
	v_lshl_add_u64 v[2:3], v[4:5], 0, v[2:3]
	global_load_dwordx2 v[4:5], v[2:3], off sc0 sc1
	s_waitcnt vmcnt(0)
	global_atomic_cmpswap_x2 v[4:5], v0, v[4:7], s[26:27] offset:24 sc0 sc1
	s_waitcnt vmcnt(0)
	buffer_inv sc0 sc1
	v_cmp_ne_u64_e32 vcc, v[4:5], v[6:7]
	s_and_saveexec_b64 s[6:7], vcc
	s_cbranch_execz .LBB3_1155
; %bb.1152:
	s_mov_b64 s[10:11], 0
.LBB3_1153:                             ; =>This Inner Loop Header: Depth=1
	s_sleep 1
	global_load_dwordx2 v[2:3], v0, s[26:27] offset:40
	global_load_dwordx2 v[8:9], v0, s[26:27]
	v_mov_b64_e32 v[6:7], v[4:5]
	s_waitcnt vmcnt(1)
	v_and_b32_e32 v2, v2, v6
	v_and_b32_e32 v1, v3, v7
	s_waitcnt vmcnt(0)
	v_mad_u64_u32 v[2:3], s[16:17], v2, 24, v[8:9]
	v_mov_b32_e32 v4, v3
	v_mad_u64_u32 v[4:5], s[16:17], v1, 24, v[4:5]
	v_mov_b32_e32 v3, v4
	global_load_dwordx2 v[4:5], v[2:3], off sc0 sc1
	s_waitcnt vmcnt(0)
	global_atomic_cmpswap_x2 v[4:5], v0, v[4:7], s[26:27] offset:24 sc0 sc1
	s_waitcnt vmcnt(0)
	buffer_inv sc0 sc1
	v_cmp_eq_u64_e32 vcc, v[4:5], v[6:7]
	s_or_b64 s[10:11], vcc, s[10:11]
	s_andn2_b64 exec, exec, s[10:11]
	s_cbranch_execnz .LBB3_1153
; %bb.1154:
	s_or_b64 exec, exec, s[10:11]
.LBB3_1155:
	s_or_b64 exec, exec, s[6:7]
.LBB3_1156:
	s_or_b64 exec, exec, s[4:5]
	v_mov_b32_e32 v49, 0
	global_load_dwordx2 v[6:7], v49, s[26:27] offset:40
	global_load_dwordx4 v[0:3], v49, s[26:27]
	v_readfirstlane_b32 s4, v4
	v_readfirstlane_b32 s5, v5
	s_mov_b64 s[6:7], exec
	s_waitcnt vmcnt(1)
	v_readfirstlane_b32 s10, v6
	v_readfirstlane_b32 s11, v7
	s_and_b64 s[10:11], s[4:5], s[10:11]
	s_mul_i32 s15, s11, 24
	s_mul_hi_u32 s16, s10, 24
	s_add_i32 s17, s16, s15
	s_mul_i32 s16, s10, 24
	s_waitcnt vmcnt(0)
	v_lshl_add_u64 v[4:5], v[0:1], 0, s[16:17]
	s_and_saveexec_b64 s[16:17], s[0:1]
	s_cbranch_execz .LBB3_1158
; %bb.1157:
	v_mov_b64_e32 v[6:7], s[6:7]
	v_mov_b32_e32 v8, 2
	v_mov_b32_e32 v9, 1
	global_store_dwordx4 v[4:5], v[6:9], off offset:8
.LBB3_1158:
	s_or_b64 exec, exec, s[16:17]
	s_lshl_b64 s[6:7], s[10:11], 12
	v_lshl_add_u64 v[6:7], v[2:3], 0, s[6:7]
	s_mov_b32 s36, 0
	v_mov_b32_e32 v8, 33
	v_mov_b32_e32 v9, v49
	;; [unrolled: 1-line block ×4, first 2 shown]
	v_readfirstlane_b32 s6, v6
	v_readfirstlane_b32 s7, v7
	s_mov_b32 s37, s36
	s_mov_b32 s38, s36
	;; [unrolled: 1-line block ×3, first 2 shown]
	s_nop 1
	global_store_dwordx4 v48, v[8:11], s[6:7]
	s_nop 1
	v_mov_b64_e32 v[8:9], s[36:37]
	v_mov_b64_e32 v[10:11], s[38:39]
	global_store_dwordx4 v48, v[8:11], s[6:7] offset:16
	global_store_dwordx4 v48, v[8:11], s[6:7] offset:32
	;; [unrolled: 1-line block ×3, first 2 shown]
	s_and_saveexec_b64 s[6:7], s[0:1]
	s_cbranch_execz .LBB3_1166
; %bb.1159:
	v_mov_b32_e32 v10, 0
	global_load_dwordx2 v[14:15], v10, s[26:27] offset:32 sc0 sc1
	global_load_dwordx2 v[2:3], v10, s[26:27] offset:40
	v_mov_b32_e32 v12, s4
	v_mov_b32_e32 v13, s5
	s_waitcnt vmcnt(0)
	v_readfirstlane_b32 s10, v2
	v_readfirstlane_b32 s11, v3
	s_and_b64 s[10:11], s[10:11], s[4:5]
	s_mul_i32 s11, s11, 24
	s_mul_hi_u32 s15, s10, 24
	s_mul_i32 s10, s10, 24
	s_add_i32 s11, s15, s11
	v_lshl_add_u64 v[8:9], v[0:1], 0, s[10:11]
	global_store_dwordx2 v[8:9], v[14:15], off
	buffer_wbl2 sc0 sc1
	s_waitcnt vmcnt(0)
	global_atomic_cmpswap_x2 v[2:3], v10, v[12:15], s[26:27] offset:32 sc0 sc1
	s_waitcnt vmcnt(0)
	v_cmp_ne_u64_e32 vcc, v[2:3], v[14:15]
	s_and_saveexec_b64 s[10:11], vcc
	s_cbranch_execz .LBB3_1162
; %bb.1160:
	s_mov_b64 s[16:17], 0
.LBB3_1161:                             ; =>This Inner Loop Header: Depth=1
	s_sleep 1
	global_store_dwordx2 v[8:9], v[2:3], off
	v_mov_b32_e32 v0, s4
	v_mov_b32_e32 v1, s5
	buffer_wbl2 sc0 sc1
	s_waitcnt vmcnt(0)
	global_atomic_cmpswap_x2 v[0:1], v10, v[0:3], s[26:27] offset:32 sc0 sc1
	s_waitcnt vmcnt(0)
	v_cmp_eq_u64_e32 vcc, v[0:1], v[2:3]
	s_or_b64 s[16:17], vcc, s[16:17]
	v_mov_b64_e32 v[2:3], v[0:1]
	s_andn2_b64 exec, exec, s[16:17]
	s_cbranch_execnz .LBB3_1161
.LBB3_1162:
	s_or_b64 exec, exec, s[10:11]
	v_mov_b32_e32 v3, 0
	global_load_dwordx2 v[0:1], v3, s[26:27] offset:16
	s_mov_b64 s[10:11], exec
	v_mbcnt_lo_u32_b32 v2, s10, 0
	v_mbcnt_hi_u32_b32 v2, s11, v2
	v_cmp_eq_u32_e32 vcc, 0, v2
	s_and_saveexec_b64 s[16:17], vcc
	s_cbranch_execz .LBB3_1164
; %bb.1163:
	s_bcnt1_i32_b64 s10, s[10:11]
	v_mov_b32_e32 v2, s10
	buffer_wbl2 sc0 sc1
	s_waitcnt vmcnt(0)
	global_atomic_add_x2 v[0:1], v[2:3], off offset:8 sc1
.LBB3_1164:
	s_or_b64 exec, exec, s[16:17]
	s_waitcnt vmcnt(0)
	global_load_dwordx2 v[2:3], v[0:1], off offset:16
	s_waitcnt vmcnt(0)
	v_cmp_eq_u64_e32 vcc, 0, v[2:3]
	s_cbranch_vccnz .LBB3_1166
; %bb.1165:
	global_load_dword v0, v[0:1], off offset:24
	v_mov_b32_e32 v1, 0
	buffer_wbl2 sc0 sc1
	s_waitcnt vmcnt(0)
	global_store_dwordx2 v[2:3], v[0:1], off sc0 sc1
	v_and_b32_e32 v0, 0xffffff, v0
	s_nop 0
	v_readfirstlane_b32 m0, v0
	s_sendmsg sendmsg(MSG_INTERRUPT)
.LBB3_1166:
	s_or_b64 exec, exec, s[6:7]
	v_lshl_add_u64 v[0:1], v[6:7], 0, v[48:49]
	s_branch .LBB3_1170
.LBB3_1167:                             ;   in Loop: Header=BB3_1170 Depth=1
	s_or_b64 exec, exec, s[6:7]
	v_readfirstlane_b32 s6, v2
	s_cmp_eq_u32 s6, 0
	s_cbranch_scc1 .LBB3_1169
; %bb.1168:                             ;   in Loop: Header=BB3_1170 Depth=1
	s_sleep 1
	s_cbranch_execnz .LBB3_1170
	s_branch .LBB3_1172
.LBB3_1169:
	s_branch .LBB3_1172
.LBB3_1170:                             ; =>This Inner Loop Header: Depth=1
	v_mov_b32_e32 v2, 1
	s_and_saveexec_b64 s[6:7], s[0:1]
	s_cbranch_execz .LBB3_1167
; %bb.1171:                             ;   in Loop: Header=BB3_1170 Depth=1
	global_load_dword v2, v[4:5], off offset:20 sc0 sc1
	s_waitcnt vmcnt(0)
	buffer_inv sc0 sc1
	v_and_b32_e32 v2, 1, v2
	s_branch .LBB3_1167
.LBB3_1172:
	global_load_dwordx2 v[0:1], v[0:1], off
	s_and_saveexec_b64 s[6:7], s[0:1]
	s_cbranch_execz .LBB3_1175
; %bb.1173:
	v_mov_b32_e32 v8, 0
	global_load_dwordx2 v[6:7], v8, s[26:27] offset:40
	global_load_dwordx2 v[10:11], v8, s[26:27] offset:24 sc0 sc1
	global_load_dwordx2 v[12:13], v8, s[26:27]
	s_mov_b64 s[0:1], 0
	s_waitcnt vmcnt(2)
	v_lshl_add_u64 v[2:3], v[6:7], 0, 1
	v_lshl_add_u64 v[14:15], v[2:3], 0, s[4:5]
	v_cmp_eq_u64_e32 vcc, 0, v[14:15]
	s_waitcnt vmcnt(1)
	v_mov_b32_e32 v4, v10
	v_cndmask_b32_e32 v3, v15, v3, vcc
	v_cndmask_b32_e32 v2, v14, v2, vcc
	v_and_b32_e32 v5, v3, v7
	v_and_b32_e32 v6, v2, v6
	v_mul_lo_u32 v5, v5, 24
	v_mul_hi_u32 v7, v6, 24
	v_mul_lo_u32 v6, v6, 24
	v_add_u32_e32 v7, v7, v5
	s_waitcnt vmcnt(0)
	v_lshl_add_u64 v[6:7], v[12:13], 0, v[6:7]
	global_store_dwordx2 v[6:7], v[10:11], off
	v_mov_b32_e32 v5, v11
	buffer_wbl2 sc0 sc1
	s_waitcnt vmcnt(0)
	global_atomic_cmpswap_x2 v[4:5], v8, v[2:5], s[26:27] offset:24 sc0 sc1
	s_waitcnt vmcnt(0)
	v_cmp_ne_u64_e32 vcc, v[4:5], v[10:11]
	s_and_b64 exec, exec, vcc
	s_cbranch_execz .LBB3_1175
.LBB3_1174:                             ; =>This Inner Loop Header: Depth=1
	s_sleep 1
	global_store_dwordx2 v[6:7], v[4:5], off
	buffer_wbl2 sc0 sc1
	s_waitcnt vmcnt(0)
	global_atomic_cmpswap_x2 v[10:11], v8, v[2:5], s[26:27] offset:24 sc0 sc1
	s_waitcnt vmcnt(0)
	v_cmp_eq_u64_e32 vcc, v[10:11], v[4:5]
	s_or_b64 s[0:1], vcc, s[0:1]
	v_mov_b64_e32 v[4:5], v[10:11]
	s_andn2_b64 exec, exec, s[0:1]
	s_cbranch_execnz .LBB3_1174
.LBB3_1175:
	s_or_b64 exec, exec, s[6:7]
	s_and_b64 vcc, exec, s[28:29]
	s_cbranch_vccz .LBB3_1260
; %bb.1176:
	s_waitcnt vmcnt(0)
	v_and_b32_e32 v28, 2, v0
	v_mov_b32_e32 v31, 0
	v_and_b32_e32 v2, -3, v0
	v_mov_b32_e32 v3, v1
	s_mov_b64 s[6:7], 3
	v_mov_b32_e32 v6, 2
	v_mov_b32_e32 v7, 1
	s_getpc_b64 s[4:5]
	s_add_u32 s4, s4, .str.6@rel32@lo+4
	s_addc_u32 s5, s5, .str.6@rel32@hi+12
	s_branch .LBB3_1178
.LBB3_1177:                             ;   in Loop: Header=BB3_1178 Depth=1
	s_or_b64 exec, exec, s[20:21]
	s_sub_u32 s6, s6, s10
	s_subb_u32 s7, s7, s11
	s_add_u32 s4, s4, s10
	s_addc_u32 s5, s5, s11
	s_cmp_lg_u64 s[6:7], 0
	s_cbranch_scc0 .LBB3_1259
.LBB3_1178:                             ; =>This Loop Header: Depth=1
                                        ;     Child Loop BB3_1181 Depth 2
                                        ;     Child Loop BB3_1188 Depth 2
	;; [unrolled: 1-line block ×11, first 2 shown]
	v_cmp_lt_u64_e64 s[0:1], s[6:7], 56
	s_and_b64 s[0:1], s[0:1], exec
	v_cmp_gt_u64_e64 s[0:1], s[6:7], 7
	s_cselect_b32 s11, s7, 0
	s_cselect_b32 s10, s6, 56
	s_and_b64 vcc, exec, s[0:1]
	s_cbranch_vccnz .LBB3_1183
; %bb.1179:                             ;   in Loop: Header=BB3_1178 Depth=1
	s_mov_b64 s[0:1], 0
	s_cmp_eq_u64 s[6:7], 0
	v_mov_b64_e32 v[10:11], 0
	s_cbranch_scc1 .LBB3_1182
; %bb.1180:                             ;   in Loop: Header=BB3_1178 Depth=1
	s_lshl_b64 s[16:17], s[10:11], 3
	s_mov_b64 s[20:21], 0
	v_mov_b64_e32 v[10:11], 0
	s_mov_b64 vcc, s[4:5]
.LBB3_1181:                             ;   Parent Loop BB3_1178 Depth=1
                                        ; =>  This Inner Loop Header: Depth=2
	global_load_ubyte v4, v31, vcc
	s_waitcnt vmcnt(0)
	v_and_b32_e32 v30, 0xffff, v4
	v_lshlrev_b64 v[4:5], s20, v[30:31]
	s_add_u32 s20, s20, 8
	s_addc_u32 s21, s21, 0
	s_add_u32 vcc_lo, vcc_lo, 1
	s_addc_u32 vcc_hi, vcc_hi, 0
	v_or_b32_e32 v10, v4, v10
	s_cmp_lg_u32 s16, s20
	v_or_b32_e32 v11, v5, v11
	s_cbranch_scc1 .LBB3_1181
.LBB3_1182:                             ;   in Loop: Header=BB3_1178 Depth=1
	s_mov_b32 s15, 0
	s_andn2_b64 vcc, exec, s[0:1]
	s_mov_b64 s[0:1], s[4:5]
	s_cbranch_vccz .LBB3_1184
	s_branch .LBB3_1185
.LBB3_1183:                             ;   in Loop: Header=BB3_1178 Depth=1
                                        ; implicit-def: $vgpr10_vgpr11
                                        ; implicit-def: $sgpr15
	s_mov_b64 s[0:1], s[4:5]
.LBB3_1184:                             ;   in Loop: Header=BB3_1178 Depth=1
	global_load_dwordx2 v[10:11], v31, s[4:5]
	s_add_i32 s15, s10, -8
	s_add_u32 s0, s4, 8
	s_addc_u32 s1, s5, 0
.LBB3_1185:                             ;   in Loop: Header=BB3_1178 Depth=1
	s_cmp_gt_u32 s15, 7
	s_cbranch_scc1 .LBB3_1189
; %bb.1186:                             ;   in Loop: Header=BB3_1178 Depth=1
	s_cmp_eq_u32 s15, 0
	s_cbranch_scc1 .LBB3_1190
; %bb.1187:                             ;   in Loop: Header=BB3_1178 Depth=1
	s_mov_b64 s[16:17], 0
	v_mov_b64_e32 v[12:13], 0
	s_mov_b64 s[20:21], 0
.LBB3_1188:                             ;   Parent Loop BB3_1178 Depth=1
                                        ; =>  This Inner Loop Header: Depth=2
	s_add_u32 vcc_lo, s0, s20
	s_addc_u32 vcc_hi, s1, s21
	global_load_ubyte v4, v31, vcc
	s_add_u32 s20, s20, 1
	s_addc_u32 s21, s21, 0
	s_waitcnt vmcnt(0)
	v_and_b32_e32 v30, 0xffff, v4
	v_lshlrev_b64 v[4:5], s16, v[30:31]
	s_add_u32 s16, s16, 8
	s_addc_u32 s17, s17, 0
	v_or_b32_e32 v12, v4, v12
	s_cmp_lg_u32 s15, s20
	v_or_b32_e32 v13, v5, v13
	s_cbranch_scc1 .LBB3_1188
	s_branch .LBB3_1191
.LBB3_1189:                             ;   in Loop: Header=BB3_1178 Depth=1
                                        ; implicit-def: $vgpr12_vgpr13
                                        ; implicit-def: $sgpr30
	s_branch .LBB3_1192
.LBB3_1190:                             ;   in Loop: Header=BB3_1178 Depth=1
	v_mov_b64_e32 v[12:13], 0
.LBB3_1191:                             ;   in Loop: Header=BB3_1178 Depth=1
	s_mov_b32 s30, 0
	s_cbranch_execnz .LBB3_1193
.LBB3_1192:                             ;   in Loop: Header=BB3_1178 Depth=1
	global_load_dwordx2 v[12:13], v31, s[0:1]
	s_add_i32 s30, s15, -8
	s_add_u32 s0, s0, 8
	s_addc_u32 s1, s1, 0
.LBB3_1193:                             ;   in Loop: Header=BB3_1178 Depth=1
	s_cmp_gt_u32 s30, 7
	s_cbranch_scc1 .LBB3_1197
; %bb.1194:                             ;   in Loop: Header=BB3_1178 Depth=1
	s_cmp_eq_u32 s30, 0
	s_cbranch_scc1 .LBB3_1198
; %bb.1195:                             ;   in Loop: Header=BB3_1178 Depth=1
	s_mov_b64 s[16:17], 0
	v_mov_b64_e32 v[14:15], 0
	s_mov_b64 s[20:21], 0
.LBB3_1196:                             ;   Parent Loop BB3_1178 Depth=1
                                        ; =>  This Inner Loop Header: Depth=2
	s_add_u32 vcc_lo, s0, s20
	s_addc_u32 vcc_hi, s1, s21
	global_load_ubyte v4, v31, vcc
	s_add_u32 s20, s20, 1
	s_addc_u32 s21, s21, 0
	s_waitcnt vmcnt(0)
	v_and_b32_e32 v30, 0xffff, v4
	v_lshlrev_b64 v[4:5], s16, v[30:31]
	s_add_u32 s16, s16, 8
	s_addc_u32 s17, s17, 0
	v_or_b32_e32 v14, v4, v14
	s_cmp_lg_u32 s30, s20
	v_or_b32_e32 v15, v5, v15
	s_cbranch_scc1 .LBB3_1196
	s_branch .LBB3_1199
.LBB3_1197:                             ;   in Loop: Header=BB3_1178 Depth=1
                                        ; implicit-def: $sgpr15
	s_branch .LBB3_1200
.LBB3_1198:                             ;   in Loop: Header=BB3_1178 Depth=1
	v_mov_b64_e32 v[14:15], 0
.LBB3_1199:                             ;   in Loop: Header=BB3_1178 Depth=1
	s_mov_b32 s15, 0
	s_cbranch_execnz .LBB3_1201
.LBB3_1200:                             ;   in Loop: Header=BB3_1178 Depth=1
	global_load_dwordx2 v[14:15], v31, s[0:1]
	s_add_i32 s15, s30, -8
	s_add_u32 s0, s0, 8
	s_addc_u32 s1, s1, 0
.LBB3_1201:                             ;   in Loop: Header=BB3_1178 Depth=1
	s_cmp_gt_u32 s15, 7
	s_cbranch_scc1 .LBB3_1205
; %bb.1202:                             ;   in Loop: Header=BB3_1178 Depth=1
	s_cmp_eq_u32 s15, 0
	s_cbranch_scc1 .LBB3_1206
; %bb.1203:                             ;   in Loop: Header=BB3_1178 Depth=1
	s_mov_b64 s[16:17], 0
	v_mov_b64_e32 v[16:17], 0
	s_mov_b64 s[20:21], 0
.LBB3_1204:                             ;   Parent Loop BB3_1178 Depth=1
                                        ; =>  This Inner Loop Header: Depth=2
	s_add_u32 vcc_lo, s0, s20
	s_addc_u32 vcc_hi, s1, s21
	global_load_ubyte v4, v31, vcc
	s_add_u32 s20, s20, 1
	s_addc_u32 s21, s21, 0
	s_waitcnt vmcnt(0)
	v_and_b32_e32 v30, 0xffff, v4
	v_lshlrev_b64 v[4:5], s16, v[30:31]
	s_add_u32 s16, s16, 8
	s_addc_u32 s17, s17, 0
	v_or_b32_e32 v16, v4, v16
	s_cmp_lg_u32 s15, s20
	v_or_b32_e32 v17, v5, v17
	s_cbranch_scc1 .LBB3_1204
	s_branch .LBB3_1207
.LBB3_1205:                             ;   in Loop: Header=BB3_1178 Depth=1
                                        ; implicit-def: $vgpr16_vgpr17
                                        ; implicit-def: $sgpr30
	s_branch .LBB3_1208
.LBB3_1206:                             ;   in Loop: Header=BB3_1178 Depth=1
	v_mov_b64_e32 v[16:17], 0
.LBB3_1207:                             ;   in Loop: Header=BB3_1178 Depth=1
	s_mov_b32 s30, 0
	s_cbranch_execnz .LBB3_1209
.LBB3_1208:                             ;   in Loop: Header=BB3_1178 Depth=1
	global_load_dwordx2 v[16:17], v31, s[0:1]
	s_add_i32 s30, s15, -8
	s_add_u32 s0, s0, 8
	s_addc_u32 s1, s1, 0
.LBB3_1209:                             ;   in Loop: Header=BB3_1178 Depth=1
	s_cmp_gt_u32 s30, 7
	s_cbranch_scc1 .LBB3_1213
; %bb.1210:                             ;   in Loop: Header=BB3_1178 Depth=1
	s_cmp_eq_u32 s30, 0
	s_cbranch_scc1 .LBB3_1214
; %bb.1211:                             ;   in Loop: Header=BB3_1178 Depth=1
	s_mov_b64 s[16:17], 0
	v_mov_b64_e32 v[18:19], 0
	s_mov_b64 s[20:21], 0
.LBB3_1212:                             ;   Parent Loop BB3_1178 Depth=1
                                        ; =>  This Inner Loop Header: Depth=2
	s_add_u32 vcc_lo, s0, s20
	s_addc_u32 vcc_hi, s1, s21
	global_load_ubyte v4, v31, vcc
	s_add_u32 s20, s20, 1
	s_addc_u32 s21, s21, 0
	s_waitcnt vmcnt(0)
	v_and_b32_e32 v30, 0xffff, v4
	v_lshlrev_b64 v[4:5], s16, v[30:31]
	s_add_u32 s16, s16, 8
	s_addc_u32 s17, s17, 0
	v_or_b32_e32 v18, v4, v18
	s_cmp_lg_u32 s30, s20
	v_or_b32_e32 v19, v5, v19
	s_cbranch_scc1 .LBB3_1212
	s_branch .LBB3_1215
.LBB3_1213:                             ;   in Loop: Header=BB3_1178 Depth=1
                                        ; implicit-def: $sgpr15
	s_branch .LBB3_1216
.LBB3_1214:                             ;   in Loop: Header=BB3_1178 Depth=1
	v_mov_b64_e32 v[18:19], 0
.LBB3_1215:                             ;   in Loop: Header=BB3_1178 Depth=1
	s_mov_b32 s15, 0
	s_cbranch_execnz .LBB3_1217
.LBB3_1216:                             ;   in Loop: Header=BB3_1178 Depth=1
	global_load_dwordx2 v[18:19], v31, s[0:1]
	s_add_i32 s15, s30, -8
	s_add_u32 s0, s0, 8
	s_addc_u32 s1, s1, 0
.LBB3_1217:                             ;   in Loop: Header=BB3_1178 Depth=1
	s_cmp_gt_u32 s15, 7
	s_cbranch_scc1 .LBB3_1221
; %bb.1218:                             ;   in Loop: Header=BB3_1178 Depth=1
	s_cmp_eq_u32 s15, 0
	s_cbranch_scc1 .LBB3_1222
; %bb.1219:                             ;   in Loop: Header=BB3_1178 Depth=1
	s_mov_b64 s[16:17], 0
	v_mov_b64_e32 v[20:21], 0
	s_mov_b64 s[20:21], 0
.LBB3_1220:                             ;   Parent Loop BB3_1178 Depth=1
                                        ; =>  This Inner Loop Header: Depth=2
	s_add_u32 vcc_lo, s0, s20
	s_addc_u32 vcc_hi, s1, s21
	global_load_ubyte v4, v31, vcc
	s_add_u32 s20, s20, 1
	s_addc_u32 s21, s21, 0
	s_waitcnt vmcnt(0)
	v_and_b32_e32 v30, 0xffff, v4
	v_lshlrev_b64 v[4:5], s16, v[30:31]
	s_add_u32 s16, s16, 8
	s_addc_u32 s17, s17, 0
	v_or_b32_e32 v20, v4, v20
	s_cmp_lg_u32 s15, s20
	v_or_b32_e32 v21, v5, v21
	s_cbranch_scc1 .LBB3_1220
	s_branch .LBB3_1223
.LBB3_1221:                             ;   in Loop: Header=BB3_1178 Depth=1
                                        ; implicit-def: $vgpr20_vgpr21
                                        ; implicit-def: $sgpr30
	s_branch .LBB3_1224
.LBB3_1222:                             ;   in Loop: Header=BB3_1178 Depth=1
	v_mov_b64_e32 v[20:21], 0
.LBB3_1223:                             ;   in Loop: Header=BB3_1178 Depth=1
	s_mov_b32 s30, 0
	s_cbranch_execnz .LBB3_1225
.LBB3_1224:                             ;   in Loop: Header=BB3_1178 Depth=1
	global_load_dwordx2 v[20:21], v31, s[0:1]
	s_add_i32 s30, s15, -8
	s_add_u32 s0, s0, 8
	s_addc_u32 s1, s1, 0
.LBB3_1225:                             ;   in Loop: Header=BB3_1178 Depth=1
	s_cmp_gt_u32 s30, 7
	s_cbranch_scc1 .LBB3_1229
; %bb.1226:                             ;   in Loop: Header=BB3_1178 Depth=1
	s_cmp_eq_u32 s30, 0
	s_cbranch_scc1 .LBB3_1230
; %bb.1227:                             ;   in Loop: Header=BB3_1178 Depth=1
	s_mov_b64 s[16:17], 0
	v_mov_b64_e32 v[22:23], 0
	s_mov_b64 s[20:21], s[0:1]
.LBB3_1228:                             ;   Parent Loop BB3_1178 Depth=1
                                        ; =>  This Inner Loop Header: Depth=2
	global_load_ubyte v4, v31, s[20:21]
	s_add_i32 s30, s30, -1
	s_waitcnt vmcnt(0)
	v_and_b32_e32 v30, 0xffff, v4
	v_lshlrev_b64 v[4:5], s16, v[30:31]
	s_add_u32 s16, s16, 8
	s_addc_u32 s17, s17, 0
	s_add_u32 s20, s20, 1
	s_addc_u32 s21, s21, 0
	v_or_b32_e32 v22, v4, v22
	s_cmp_lg_u32 s30, 0
	v_or_b32_e32 v23, v5, v23
	s_cbranch_scc1 .LBB3_1228
	s_branch .LBB3_1231
.LBB3_1229:                             ;   in Loop: Header=BB3_1178 Depth=1
	s_branch .LBB3_1232
.LBB3_1230:                             ;   in Loop: Header=BB3_1178 Depth=1
	v_mov_b64_e32 v[22:23], 0
.LBB3_1231:                             ;   in Loop: Header=BB3_1178 Depth=1
	s_cbranch_execnz .LBB3_1233
.LBB3_1232:                             ;   in Loop: Header=BB3_1178 Depth=1
	global_load_dwordx2 v[22:23], v31, s[0:1]
.LBB3_1233:                             ;   in Loop: Header=BB3_1178 Depth=1
	v_readfirstlane_b32 s0, v37
	s_waitcnt vmcnt(0)
	v_mov_b64_e32 v[4:5], 0
	v_cmp_eq_u32_e64 s[0:1], s0, v37
	s_and_saveexec_b64 s[16:17], s[0:1]
	s_cbranch_execz .LBB3_1239
; %bb.1234:                             ;   in Loop: Header=BB3_1178 Depth=1
	global_load_dwordx2 v[26:27], v31, s[26:27] offset:24 sc0 sc1
	s_waitcnt vmcnt(0)
	buffer_inv sc0 sc1
	global_load_dwordx2 v[4:5], v31, s[26:27] offset:40
	global_load_dwordx2 v[8:9], v31, s[26:27]
	s_waitcnt vmcnt(1)
	v_and_b32_e32 v4, v4, v26
	v_and_b32_e32 v5, v5, v27
	v_mul_lo_u32 v5, v5, 24
	v_mul_hi_u32 v24, v4, 24
	v_add_u32_e32 v5, v24, v5
	v_mul_lo_u32 v4, v4, 24
	s_waitcnt vmcnt(0)
	v_lshl_add_u64 v[4:5], v[8:9], 0, v[4:5]
	global_load_dwordx2 v[24:25], v[4:5], off sc0 sc1
	s_waitcnt vmcnt(0)
	global_atomic_cmpswap_x2 v[4:5], v31, v[24:27], s[26:27] offset:24 sc0 sc1
	s_waitcnt vmcnt(0)
	buffer_inv sc0 sc1
	v_cmp_ne_u64_e32 vcc, v[4:5], v[26:27]
	s_and_saveexec_b64 s[20:21], vcc
	s_cbranch_execz .LBB3_1238
; %bb.1235:                             ;   in Loop: Header=BB3_1178 Depth=1
	s_mov_b64 s[30:31], 0
.LBB3_1236:                             ;   Parent Loop BB3_1178 Depth=1
                                        ; =>  This Inner Loop Header: Depth=2
	s_sleep 1
	global_load_dwordx2 v[8:9], v31, s[26:27] offset:40
	global_load_dwordx2 v[24:25], v31, s[26:27]
	v_mov_b64_e32 v[26:27], v[4:5]
	s_waitcnt vmcnt(1)
	v_and_b32_e32 v4, v8, v26
	s_waitcnt vmcnt(0)
	v_mad_u64_u32 v[4:5], vcc, v4, 24, v[24:25]
	v_and_b32_e32 v9, v9, v27
	v_mov_b32_e32 v8, v5
	v_mad_u64_u32 v[8:9], vcc, v9, 24, v[8:9]
	v_mov_b32_e32 v5, v8
	global_load_dwordx2 v[24:25], v[4:5], off sc0 sc1
	s_waitcnt vmcnt(0)
	global_atomic_cmpswap_x2 v[4:5], v31, v[24:27], s[26:27] offset:24 sc0 sc1
	s_waitcnt vmcnt(0)
	buffer_inv sc0 sc1
	v_cmp_eq_u64_e32 vcc, v[4:5], v[26:27]
	s_or_b64 s[30:31], vcc, s[30:31]
	s_andn2_b64 exec, exec, s[30:31]
	s_cbranch_execnz .LBB3_1236
; %bb.1237:                             ;   in Loop: Header=BB3_1178 Depth=1
	s_or_b64 exec, exec, s[30:31]
.LBB3_1238:                             ;   in Loop: Header=BB3_1178 Depth=1
	s_or_b64 exec, exec, s[20:21]
.LBB3_1239:                             ;   in Loop: Header=BB3_1178 Depth=1
	s_or_b64 exec, exec, s[16:17]
	global_load_dwordx2 v[8:9], v31, s[26:27] offset:40
	global_load_dwordx4 v[24:27], v31, s[26:27]
	v_readfirstlane_b32 s16, v4
	v_readfirstlane_b32 s17, v5
	s_mov_b64 s[20:21], exec
	s_waitcnt vmcnt(1)
	v_readfirstlane_b32 vcc_lo, v8
	v_readfirstlane_b32 vcc_hi, v9
	s_and_b64 vcc, s[16:17], vcc
	s_mul_i32 s15, vcc_hi, 24
	s_mul_hi_u32 s30, vcc_lo, 24
	s_add_i32 s31, s30, s15
	s_mul_i32 s30, vcc_lo, 24
	s_waitcnt vmcnt(0)
	v_lshl_add_u64 v[32:33], v[24:25], 0, s[30:31]
	s_and_saveexec_b64 s[30:31], s[0:1]
	s_cbranch_execz .LBB3_1241
; %bb.1240:                             ;   in Loop: Header=BB3_1178 Depth=1
	v_mov_b64_e32 v[4:5], s[20:21]
	global_store_dwordx4 v[32:33], v[4:7], off offset:8
.LBB3_1241:                             ;   in Loop: Header=BB3_1178 Depth=1
	s_or_b64 exec, exec, s[30:31]
	s_lshl_b64 s[20:21], vcc, 12
	v_or_b32_e32 v5, v2, v28
	v_cmp_gt_u64_e64 vcc, s[6:7], 56
	s_lshl_b32 s15, s10, 2
	s_add_i32 s15, s15, 28
	v_cndmask_b32_e32 v2, v5, v2, vcc
	v_lshl_add_u64 v[26:27], v[26:27], 0, s[20:21]
	v_or_b32_e32 v4, 0, v3
	s_and_b32 s15, s15, 0x1e0
	v_and_b32_e32 v2, 0xffffff1f, v2
	v_cndmask_b32_e32 v9, v4, v3, vcc
	v_or_b32_e32 v8, s15, v2
	v_readfirstlane_b32 s20, v26
	v_readfirstlane_b32 s21, v27
	s_nop 4
	global_store_dwordx4 v48, v[8:11], s[20:21]
	global_store_dwordx4 v48, v[12:15], s[20:21] offset:16
	global_store_dwordx4 v48, v[16:19], s[20:21] offset:32
	;; [unrolled: 1-line block ×3, first 2 shown]
	s_and_saveexec_b64 s[20:21], s[0:1]
	s_cbranch_execz .LBB3_1249
; %bb.1242:                             ;   in Loop: Header=BB3_1178 Depth=1
	global_load_dwordx2 v[12:13], v31, s[26:27] offset:32 sc0 sc1
	global_load_dwordx2 v[2:3], v31, s[26:27] offset:40
	v_mov_b32_e32 v10, s16
	v_mov_b32_e32 v11, s17
	s_waitcnt vmcnt(0)
	v_readfirstlane_b32 vcc_lo, v2
	v_readfirstlane_b32 vcc_hi, v3
	s_and_b64 vcc, vcc, s[16:17]
	s_mul_i32 s15, vcc_hi, 24
	s_mul_hi_u32 vcc_hi, vcc_lo, 24
	s_mul_i32 vcc_lo, vcc_lo, 24
	s_add_i32 vcc_hi, vcc_hi, s15
	v_lshl_add_u64 v[8:9], v[24:25], 0, vcc
	global_store_dwordx2 v[8:9], v[12:13], off
	buffer_wbl2 sc0 sc1
	s_waitcnt vmcnt(0)
	global_atomic_cmpswap_x2 v[4:5], v31, v[10:13], s[26:27] offset:32 sc0 sc1
	s_waitcnt vmcnt(0)
	v_cmp_ne_u64_e32 vcc, v[4:5], v[12:13]
	s_and_saveexec_b64 s[30:31], vcc
	s_cbranch_execz .LBB3_1245
; %bb.1243:                             ;   in Loop: Header=BB3_1178 Depth=1
	s_mov_b64 s[34:35], 0
.LBB3_1244:                             ;   Parent Loop BB3_1178 Depth=1
                                        ; =>  This Inner Loop Header: Depth=2
	s_sleep 1
	global_store_dwordx2 v[8:9], v[4:5], off
	v_mov_b32_e32 v2, s16
	v_mov_b32_e32 v3, s17
	buffer_wbl2 sc0 sc1
	s_waitcnt vmcnt(0)
	global_atomic_cmpswap_x2 v[2:3], v31, v[2:5], s[26:27] offset:32 sc0 sc1
	s_waitcnt vmcnt(0)
	v_cmp_eq_u64_e32 vcc, v[2:3], v[4:5]
	s_or_b64 s[34:35], vcc, s[34:35]
	v_mov_b64_e32 v[4:5], v[2:3]
	s_andn2_b64 exec, exec, s[34:35]
	s_cbranch_execnz .LBB3_1244
.LBB3_1245:                             ;   in Loop: Header=BB3_1178 Depth=1
	s_or_b64 exec, exec, s[30:31]
	global_load_dwordx2 v[2:3], v31, s[26:27] offset:16
	s_mov_b64 s[34:35], exec
	v_mbcnt_lo_u32_b32 v4, s34, 0
	v_mbcnt_hi_u32_b32 v4, s35, v4
	v_cmp_eq_u32_e32 vcc, 0, v4
	s_and_saveexec_b64 s[30:31], vcc
	s_cbranch_execz .LBB3_1247
; %bb.1246:                             ;   in Loop: Header=BB3_1178 Depth=1
	s_bcnt1_i32_b64 s15, s[34:35]
	v_mov_b32_e32 v30, s15
	buffer_wbl2 sc0 sc1
	s_waitcnt vmcnt(0)
	global_atomic_add_x2 v[2:3], v[30:31], off offset:8 sc1
.LBB3_1247:                             ;   in Loop: Header=BB3_1178 Depth=1
	s_or_b64 exec, exec, s[30:31]
	s_waitcnt vmcnt(0)
	global_load_dwordx2 v[4:5], v[2:3], off offset:16
	s_waitcnt vmcnt(0)
	v_cmp_eq_u64_e32 vcc, 0, v[4:5]
	s_cbranch_vccnz .LBB3_1249
; %bb.1248:                             ;   in Loop: Header=BB3_1178 Depth=1
	global_load_dword v30, v[2:3], off offset:24
	s_waitcnt vmcnt(0)
	v_and_b32_e32 v2, 0xffffff, v30
	s_nop 0
	v_readfirstlane_b32 m0, v2
	buffer_wbl2 sc0 sc1
	global_store_dwordx2 v[4:5], v[30:31], off sc0 sc1
	s_sendmsg sendmsg(MSG_INTERRUPT)
.LBB3_1249:                             ;   in Loop: Header=BB3_1178 Depth=1
	s_or_b64 exec, exec, s[20:21]
	v_mov_b32_e32 v49, v31
	v_lshl_add_u64 v[2:3], v[26:27], 0, v[48:49]
	s_branch .LBB3_1253
.LBB3_1250:                             ;   in Loop: Header=BB3_1253 Depth=2
	s_or_b64 exec, exec, s[20:21]
	v_readfirstlane_b32 s15, v4
	s_cmp_eq_u32 s15, 0
	s_cbranch_scc1 .LBB3_1252
; %bb.1251:                             ;   in Loop: Header=BB3_1253 Depth=2
	s_sleep 1
	s_cbranch_execnz .LBB3_1253
	s_branch .LBB3_1255
.LBB3_1252:                             ;   in Loop: Header=BB3_1178 Depth=1
	s_branch .LBB3_1255
.LBB3_1253:                             ;   Parent Loop BB3_1178 Depth=1
                                        ; =>  This Inner Loop Header: Depth=2
	v_mov_b32_e32 v4, 1
	s_and_saveexec_b64 s[20:21], s[0:1]
	s_cbranch_execz .LBB3_1250
; %bb.1254:                             ;   in Loop: Header=BB3_1253 Depth=2
	global_load_dword v4, v[32:33], off offset:20 sc0 sc1
	s_waitcnt vmcnt(0)
	buffer_inv sc0 sc1
	v_and_b32_e32 v4, 1, v4
	s_branch .LBB3_1250
.LBB3_1255:                             ;   in Loop: Header=BB3_1178 Depth=1
	global_load_dwordx4 v[2:5], v[2:3], off
	s_and_saveexec_b64 s[20:21], s[0:1]
	s_cbranch_execz .LBB3_1177
; %bb.1256:                             ;   in Loop: Header=BB3_1178 Depth=1
	global_load_dwordx2 v[4:5], v31, s[26:27] offset:40
	global_load_dwordx2 v[12:13], v31, s[26:27] offset:24 sc0 sc1
	global_load_dwordx2 v[14:15], v31, s[26:27]
	s_waitcnt vmcnt(2)
	v_lshl_add_u64 v[8:9], v[4:5], 0, 1
	v_lshl_add_u64 v[16:17], v[8:9], 0, s[16:17]
	v_cmp_eq_u64_e32 vcc, 0, v[16:17]
	s_waitcnt vmcnt(1)
	v_mov_b32_e32 v10, v12
	v_cndmask_b32_e32 v9, v17, v9, vcc
	v_cndmask_b32_e32 v8, v16, v8, vcc
	v_and_b32_e32 v5, v9, v5
	v_and_b32_e32 v4, v8, v4
	v_mul_lo_u32 v5, v5, 24
	v_mul_hi_u32 v11, v4, 24
	v_mul_lo_u32 v4, v4, 24
	v_add_u32_e32 v5, v11, v5
	s_waitcnt vmcnt(0)
	v_lshl_add_u64 v[4:5], v[14:15], 0, v[4:5]
	global_store_dwordx2 v[4:5], v[12:13], off
	v_mov_b32_e32 v11, v13
	buffer_wbl2 sc0 sc1
	s_waitcnt vmcnt(0)
	global_atomic_cmpswap_x2 v[10:11], v31, v[8:11], s[26:27] offset:24 sc0 sc1
	s_waitcnt vmcnt(0)
	v_cmp_ne_u64_e32 vcc, v[10:11], v[12:13]
	s_and_b64 exec, exec, vcc
	s_cbranch_execz .LBB3_1177
; %bb.1257:                             ;   in Loop: Header=BB3_1178 Depth=1
	s_mov_b64 s[0:1], 0
.LBB3_1258:                             ;   Parent Loop BB3_1178 Depth=1
                                        ; =>  This Inner Loop Header: Depth=2
	s_sleep 1
	global_store_dwordx2 v[4:5], v[10:11], off
	buffer_wbl2 sc0 sc1
	s_waitcnt vmcnt(0)
	global_atomic_cmpswap_x2 v[12:13], v31, v[8:11], s[26:27] offset:24 sc0 sc1
	s_waitcnt vmcnt(0)
	v_cmp_eq_u64_e32 vcc, v[12:13], v[10:11]
	s_or_b64 s[0:1], vcc, s[0:1]
	v_mov_b64_e32 v[10:11], v[12:13]
	s_andn2_b64 exec, exec, s[0:1]
	s_cbranch_execnz .LBB3_1258
	s_branch .LBB3_1177
.LBB3_1259:
	s_branch .LBB3_1287
.LBB3_1260:
                                        ; implicit-def: $vgpr2_vgpr3
	s_cbranch_execz .LBB3_1287
; %bb.1261:
	v_readfirstlane_b32 s0, v37
	s_waitcnt vmcnt(0)
	v_mov_b64_e32 v[2:3], 0
	v_cmp_eq_u32_e64 s[0:1], s0, v37
	s_and_saveexec_b64 s[4:5], s[0:1]
	s_cbranch_execz .LBB3_1267
; %bb.1262:
	v_mov_b32_e32 v4, 0
	global_load_dwordx2 v[8:9], v4, s[26:27] offset:24 sc0 sc1
	s_waitcnt vmcnt(0)
	buffer_inv sc0 sc1
	global_load_dwordx2 v[2:3], v4, s[26:27] offset:40
	global_load_dwordx2 v[6:7], v4, s[26:27]
	s_waitcnt vmcnt(1)
	v_and_b32_e32 v2, v2, v8
	v_and_b32_e32 v3, v3, v9
	v_mul_lo_u32 v3, v3, 24
	v_mul_hi_u32 v5, v2, 24
	v_add_u32_e32 v3, v5, v3
	v_mul_lo_u32 v2, v2, 24
	s_waitcnt vmcnt(0)
	v_lshl_add_u64 v[2:3], v[6:7], 0, v[2:3]
	global_load_dwordx2 v[6:7], v[2:3], off sc0 sc1
	s_waitcnt vmcnt(0)
	global_atomic_cmpswap_x2 v[2:3], v4, v[6:9], s[26:27] offset:24 sc0 sc1
	s_waitcnt vmcnt(0)
	buffer_inv sc0 sc1
	v_cmp_ne_u64_e32 vcc, v[2:3], v[8:9]
	s_and_saveexec_b64 s[6:7], vcc
	s_cbranch_execz .LBB3_1266
; %bb.1263:
	s_mov_b64 s[10:11], 0
.LBB3_1264:                             ; =>This Inner Loop Header: Depth=1
	s_sleep 1
	global_load_dwordx2 v[6:7], v4, s[26:27] offset:40
	global_load_dwordx2 v[10:11], v4, s[26:27]
	v_mov_b64_e32 v[8:9], v[2:3]
	s_waitcnt vmcnt(1)
	v_and_b32_e32 v2, v6, v8
	s_waitcnt vmcnt(0)
	v_mad_u64_u32 v[2:3], s[16:17], v2, 24, v[10:11]
	v_and_b32_e32 v5, v7, v9
	v_mov_b32_e32 v6, v3
	v_mad_u64_u32 v[6:7], s[16:17], v5, 24, v[6:7]
	v_mov_b32_e32 v3, v6
	global_load_dwordx2 v[6:7], v[2:3], off sc0 sc1
	s_waitcnt vmcnt(0)
	global_atomic_cmpswap_x2 v[2:3], v4, v[6:9], s[26:27] offset:24 sc0 sc1
	s_waitcnt vmcnt(0)
	buffer_inv sc0 sc1
	v_cmp_eq_u64_e32 vcc, v[2:3], v[8:9]
	s_or_b64 s[10:11], vcc, s[10:11]
	s_andn2_b64 exec, exec, s[10:11]
	s_cbranch_execnz .LBB3_1264
; %bb.1265:
	s_or_b64 exec, exec, s[10:11]
.LBB3_1266:
	s_or_b64 exec, exec, s[6:7]
.LBB3_1267:
	s_or_b64 exec, exec, s[4:5]
	v_mov_b32_e32 v49, 0
	global_load_dwordx2 v[8:9], v49, s[26:27] offset:40
	global_load_dwordx4 v[4:7], v49, s[26:27]
	v_readfirstlane_b32 s4, v2
	v_readfirstlane_b32 s5, v3
	s_mov_b64 s[6:7], exec
	s_waitcnt vmcnt(1)
	v_readfirstlane_b32 s10, v8
	v_readfirstlane_b32 s11, v9
	s_and_b64 s[10:11], s[4:5], s[10:11]
	s_mul_i32 s15, s11, 24
	s_mul_hi_u32 s16, s10, 24
	s_add_i32 s17, s16, s15
	s_mul_i32 s16, s10, 24
	s_waitcnt vmcnt(0)
	v_lshl_add_u64 v[8:9], v[4:5], 0, s[16:17]
	s_and_saveexec_b64 s[16:17], s[0:1]
	s_cbranch_execz .LBB3_1269
; %bb.1268:
	v_mov_b64_e32 v[10:11], s[6:7]
	v_mov_b32_e32 v12, 2
	v_mov_b32_e32 v13, 1
	global_store_dwordx4 v[8:9], v[10:13], off offset:8
.LBB3_1269:
	s_or_b64 exec, exec, s[16:17]
	s_lshl_b64 s[6:7], s[10:11], 12
	v_lshl_add_u64 v[6:7], v[6:7], 0, s[6:7]
	s_movk_i32 s6, 0xff1f
	s_mov_b32 s36, 0
	v_and_or_b32 v0, v0, s6, 32
	v_mov_b32_e32 v2, v49
	v_mov_b32_e32 v3, v49
	v_readfirstlane_b32 s6, v6
	v_readfirstlane_b32 s7, v7
	s_mov_b32 s37, s36
	s_mov_b32 s38, s36
	;; [unrolled: 1-line block ×3, first 2 shown]
	s_nop 1
	global_store_dwordx4 v48, v[0:3], s[6:7]
	s_nop 1
	v_mov_b64_e32 v[0:1], s[36:37]
	v_mov_b64_e32 v[2:3], s[38:39]
	global_store_dwordx4 v48, v[0:3], s[6:7] offset:16
	global_store_dwordx4 v48, v[0:3], s[6:7] offset:32
	;; [unrolled: 1-line block ×3, first 2 shown]
	s_and_saveexec_b64 s[6:7], s[0:1]
	s_cbranch_execz .LBB3_1277
; %bb.1270:
	v_mov_b32_e32 v10, 0
	global_load_dwordx2 v[14:15], v10, s[26:27] offset:32 sc0 sc1
	global_load_dwordx2 v[0:1], v10, s[26:27] offset:40
	v_mov_b32_e32 v12, s4
	v_mov_b32_e32 v13, s5
	s_waitcnt vmcnt(0)
	v_readfirstlane_b32 s10, v0
	v_readfirstlane_b32 s11, v1
	s_and_b64 s[10:11], s[10:11], s[4:5]
	s_mul_i32 s11, s11, 24
	s_mul_hi_u32 s15, s10, 24
	s_mul_i32 s10, s10, 24
	s_add_i32 s11, s15, s11
	v_lshl_add_u64 v[4:5], v[4:5], 0, s[10:11]
	global_store_dwordx2 v[4:5], v[14:15], off
	buffer_wbl2 sc0 sc1
	s_waitcnt vmcnt(0)
	global_atomic_cmpswap_x2 v[2:3], v10, v[12:15], s[26:27] offset:32 sc0 sc1
	s_waitcnt vmcnt(0)
	v_cmp_ne_u64_e32 vcc, v[2:3], v[14:15]
	s_and_saveexec_b64 s[10:11], vcc
	s_cbranch_execz .LBB3_1273
; %bb.1271:
	s_mov_b64 s[16:17], 0
.LBB3_1272:                             ; =>This Inner Loop Header: Depth=1
	s_sleep 1
	global_store_dwordx2 v[4:5], v[2:3], off
	v_mov_b32_e32 v0, s4
	v_mov_b32_e32 v1, s5
	buffer_wbl2 sc0 sc1
	s_waitcnt vmcnt(0)
	global_atomic_cmpswap_x2 v[0:1], v10, v[0:3], s[26:27] offset:32 sc0 sc1
	s_waitcnt vmcnt(0)
	v_cmp_eq_u64_e32 vcc, v[0:1], v[2:3]
	s_or_b64 s[16:17], vcc, s[16:17]
	v_mov_b64_e32 v[2:3], v[0:1]
	s_andn2_b64 exec, exec, s[16:17]
	s_cbranch_execnz .LBB3_1272
.LBB3_1273:
	s_or_b64 exec, exec, s[10:11]
	v_mov_b32_e32 v3, 0
	global_load_dwordx2 v[0:1], v3, s[26:27] offset:16
	s_mov_b64 s[10:11], exec
	v_mbcnt_lo_u32_b32 v2, s10, 0
	v_mbcnt_hi_u32_b32 v2, s11, v2
	v_cmp_eq_u32_e32 vcc, 0, v2
	s_and_saveexec_b64 s[16:17], vcc
	s_cbranch_execz .LBB3_1275
; %bb.1274:
	s_bcnt1_i32_b64 s10, s[10:11]
	v_mov_b32_e32 v2, s10
	buffer_wbl2 sc0 sc1
	s_waitcnt vmcnt(0)
	global_atomic_add_x2 v[0:1], v[2:3], off offset:8 sc1
.LBB3_1275:
	s_or_b64 exec, exec, s[16:17]
	s_waitcnt vmcnt(0)
	global_load_dwordx2 v[2:3], v[0:1], off offset:16
	s_waitcnt vmcnt(0)
	v_cmp_eq_u64_e32 vcc, 0, v[2:3]
	s_cbranch_vccnz .LBB3_1277
; %bb.1276:
	global_load_dword v0, v[0:1], off offset:24
	v_mov_b32_e32 v1, 0
	buffer_wbl2 sc0 sc1
	s_waitcnt vmcnt(0)
	global_store_dwordx2 v[2:3], v[0:1], off sc0 sc1
	v_and_b32_e32 v0, 0xffffff, v0
	s_nop 0
	v_readfirstlane_b32 m0, v0
	s_sendmsg sendmsg(MSG_INTERRUPT)
.LBB3_1277:
	s_or_b64 exec, exec, s[6:7]
	v_lshl_add_u64 v[0:1], v[6:7], 0, v[48:49]
	s_branch .LBB3_1281
.LBB3_1278:                             ;   in Loop: Header=BB3_1281 Depth=1
	s_or_b64 exec, exec, s[6:7]
	v_readfirstlane_b32 s6, v2
	s_cmp_eq_u32 s6, 0
	s_cbranch_scc1 .LBB3_1280
; %bb.1279:                             ;   in Loop: Header=BB3_1281 Depth=1
	s_sleep 1
	s_cbranch_execnz .LBB3_1281
	s_branch .LBB3_1283
.LBB3_1280:
	s_branch .LBB3_1283
.LBB3_1281:                             ; =>This Inner Loop Header: Depth=1
	v_mov_b32_e32 v2, 1
	s_and_saveexec_b64 s[6:7], s[0:1]
	s_cbranch_execz .LBB3_1278
; %bb.1282:                             ;   in Loop: Header=BB3_1281 Depth=1
	global_load_dword v2, v[8:9], off offset:20 sc0 sc1
	s_waitcnt vmcnt(0)
	buffer_inv sc0 sc1
	v_and_b32_e32 v2, 1, v2
	s_branch .LBB3_1278
.LBB3_1283:
	global_load_dwordx2 v[2:3], v[0:1], off
	s_and_saveexec_b64 s[6:7], s[0:1]
	s_cbranch_execz .LBB3_1286
; %bb.1284:
	v_mov_b32_e32 v8, 0
	global_load_dwordx2 v[0:1], v8, s[26:27] offset:40
	global_load_dwordx2 v[10:11], v8, s[26:27] offset:24 sc0 sc1
	global_load_dwordx2 v[12:13], v8, s[26:27]
	s_mov_b64 s[0:1], 0
	s_waitcnt vmcnt(2)
	v_lshl_add_u64 v[4:5], v[0:1], 0, 1
	v_lshl_add_u64 v[14:15], v[4:5], 0, s[4:5]
	v_cmp_eq_u64_e32 vcc, 0, v[14:15]
	s_waitcnt vmcnt(1)
	v_mov_b32_e32 v6, v10
	v_cndmask_b32_e32 v5, v15, v5, vcc
	v_cndmask_b32_e32 v4, v14, v4, vcc
	v_and_b32_e32 v1, v5, v1
	v_and_b32_e32 v0, v4, v0
	v_mul_lo_u32 v1, v1, 24
	v_mul_hi_u32 v7, v0, 24
	v_mul_lo_u32 v0, v0, 24
	v_add_u32_e32 v1, v7, v1
	s_waitcnt vmcnt(0)
	v_lshl_add_u64 v[0:1], v[12:13], 0, v[0:1]
	global_store_dwordx2 v[0:1], v[10:11], off
	v_mov_b32_e32 v7, v11
	buffer_wbl2 sc0 sc1
	s_waitcnt vmcnt(0)
	global_atomic_cmpswap_x2 v[6:7], v8, v[4:7], s[26:27] offset:24 sc0 sc1
	s_waitcnt vmcnt(0)
	v_cmp_ne_u64_e32 vcc, v[6:7], v[10:11]
	s_and_b64 exec, exec, vcc
	s_cbranch_execz .LBB3_1286
.LBB3_1285:                             ; =>This Inner Loop Header: Depth=1
	s_sleep 1
	global_store_dwordx2 v[0:1], v[6:7], off
	buffer_wbl2 sc0 sc1
	s_waitcnt vmcnt(0)
	global_atomic_cmpswap_x2 v[10:11], v8, v[4:7], s[26:27] offset:24 sc0 sc1
	s_waitcnt vmcnt(0)
	v_cmp_eq_u64_e32 vcc, v[10:11], v[6:7]
	s_or_b64 s[0:1], vcc, s[0:1]
	v_mov_b64_e32 v[6:7], v[10:11]
	s_andn2_b64 exec, exec, s[0:1]
	s_cbranch_execnz .LBB3_1285
.LBB3_1286:
	s_or_b64 exec, exec, s[6:7]
.LBB3_1287:
	v_readfirstlane_b32 s0, v37
	s_waitcnt vmcnt(0)
	v_mov_b64_e32 v[0:1], 0
	v_cmp_eq_u32_e64 s[0:1], s0, v37
	s_and_saveexec_b64 s[4:5], s[0:1]
	s_cbranch_execz .LBB3_1293
; %bb.1288:
	v_mov_b32_e32 v4, 0
	global_load_dwordx2 v[8:9], v4, s[26:27] offset:24 sc0 sc1
	s_waitcnt vmcnt(0)
	buffer_inv sc0 sc1
	global_load_dwordx2 v[0:1], v4, s[26:27] offset:40
	global_load_dwordx2 v[6:7], v4, s[26:27]
	s_waitcnt vmcnt(1)
	v_and_b32_e32 v0, v0, v8
	v_and_b32_e32 v1, v1, v9
	v_mul_lo_u32 v1, v1, 24
	v_mul_hi_u32 v5, v0, 24
	v_add_u32_e32 v1, v5, v1
	v_mul_lo_u32 v0, v0, 24
	s_waitcnt vmcnt(0)
	v_lshl_add_u64 v[0:1], v[6:7], 0, v[0:1]
	global_load_dwordx2 v[6:7], v[0:1], off sc0 sc1
	s_waitcnt vmcnt(0)
	global_atomic_cmpswap_x2 v[0:1], v4, v[6:9], s[26:27] offset:24 sc0 sc1
	s_waitcnt vmcnt(0)
	buffer_inv sc0 sc1
	v_cmp_ne_u64_e32 vcc, v[0:1], v[8:9]
	s_and_saveexec_b64 s[6:7], vcc
	s_cbranch_execz .LBB3_1292
; %bb.1289:
	s_mov_b64 s[10:11], 0
.LBB3_1290:                             ; =>This Inner Loop Header: Depth=1
	s_sleep 1
	global_load_dwordx2 v[6:7], v4, s[26:27] offset:40
	global_load_dwordx2 v[10:11], v4, s[26:27]
	v_mov_b64_e32 v[8:9], v[0:1]
	s_waitcnt vmcnt(1)
	v_and_b32_e32 v0, v6, v8
	s_waitcnt vmcnt(0)
	v_mad_u64_u32 v[0:1], s[16:17], v0, 24, v[10:11]
	v_and_b32_e32 v5, v7, v9
	v_mov_b32_e32 v6, v1
	v_mad_u64_u32 v[6:7], s[16:17], v5, 24, v[6:7]
	v_mov_b32_e32 v1, v6
	global_load_dwordx2 v[6:7], v[0:1], off sc0 sc1
	s_waitcnt vmcnt(0)
	global_atomic_cmpswap_x2 v[0:1], v4, v[6:9], s[26:27] offset:24 sc0 sc1
	s_waitcnt vmcnt(0)
	buffer_inv sc0 sc1
	v_cmp_eq_u64_e32 vcc, v[0:1], v[8:9]
	s_or_b64 s[10:11], vcc, s[10:11]
	s_andn2_b64 exec, exec, s[10:11]
	s_cbranch_execnz .LBB3_1290
; %bb.1291:
	s_or_b64 exec, exec, s[10:11]
.LBB3_1292:
	s_or_b64 exec, exec, s[6:7]
.LBB3_1293:
	s_or_b64 exec, exec, s[4:5]
	v_mov_b32_e32 v5, 0
	global_load_dwordx2 v[10:11], v5, s[26:27] offset:40
	global_load_dwordx4 v[6:9], v5, s[26:27]
	v_readfirstlane_b32 s4, v0
	v_readfirstlane_b32 s5, v1
	s_mov_b64 s[6:7], exec
	s_waitcnt vmcnt(1)
	v_readfirstlane_b32 s10, v10
	v_readfirstlane_b32 s11, v11
	s_and_b64 s[10:11], s[4:5], s[10:11]
	s_mul_i32 s15, s11, 24
	s_mul_hi_u32 s16, s10, 24
	s_add_i32 s17, s16, s15
	s_mul_i32 s16, s10, 24
	s_waitcnt vmcnt(0)
	v_lshl_add_u64 v[10:11], v[6:7], 0, s[16:17]
	s_and_saveexec_b64 s[16:17], s[0:1]
	s_cbranch_execz .LBB3_1295
; %bb.1294:
	v_mov_b64_e32 v[12:13], s[6:7]
	v_mov_b32_e32 v14, 2
	v_mov_b32_e32 v15, 1
	global_store_dwordx4 v[10:11], v[12:15], off offset:8
.LBB3_1295:
	s_or_b64 exec, exec, s[16:17]
	s_lshl_b64 s[6:7], s[10:11], 12
	v_lshl_add_u64 v[0:1], v[8:9], 0, s[6:7]
	s_movk_i32 s6, 0xff1d
	s_mov_b32 s36, 0
	v_and_or_b32 v2, v2, s6, 34
	v_mov_b32_e32 v4, 10
	v_readfirstlane_b32 s6, v0
	v_readfirstlane_b32 s7, v1
	s_mov_b32 s37, s36
	s_mov_b32 s38, s36
	;; [unrolled: 1-line block ×3, first 2 shown]
	s_nop 1
	global_store_dwordx4 v48, v[2:5], s[6:7]
	v_mov_b64_e32 v[0:1], s[36:37]
	s_nop 0
	v_mov_b64_e32 v[2:3], s[38:39]
	global_store_dwordx4 v48, v[0:3], s[6:7] offset:16
	global_store_dwordx4 v48, v[0:3], s[6:7] offset:32
	;; [unrolled: 1-line block ×3, first 2 shown]
	s_and_saveexec_b64 s[6:7], s[0:1]
	s_cbranch_execz .LBB3_1303
; %bb.1296:
	v_mov_b32_e32 v8, 0
	global_load_dwordx2 v[14:15], v8, s[26:27] offset:32 sc0 sc1
	global_load_dwordx2 v[0:1], v8, s[26:27] offset:40
	v_mov_b32_e32 v12, s4
	v_mov_b32_e32 v13, s5
	s_waitcnt vmcnt(0)
	v_readfirstlane_b32 s10, v0
	v_readfirstlane_b32 s11, v1
	s_and_b64 s[10:11], s[10:11], s[4:5]
	s_mul_i32 s11, s11, 24
	s_mul_hi_u32 s15, s10, 24
	s_mul_i32 s10, s10, 24
	s_add_i32 s11, s15, s11
	v_lshl_add_u64 v[4:5], v[6:7], 0, s[10:11]
	global_store_dwordx2 v[4:5], v[14:15], off
	buffer_wbl2 sc0 sc1
	s_waitcnt vmcnt(0)
	global_atomic_cmpswap_x2 v[2:3], v8, v[12:15], s[26:27] offset:32 sc0 sc1
	s_waitcnt vmcnt(0)
	v_cmp_ne_u64_e32 vcc, v[2:3], v[14:15]
	s_and_saveexec_b64 s[10:11], vcc
	s_cbranch_execz .LBB3_1299
; %bb.1297:
	s_mov_b64 s[16:17], 0
.LBB3_1298:                             ; =>This Inner Loop Header: Depth=1
	s_sleep 1
	global_store_dwordx2 v[4:5], v[2:3], off
	v_mov_b32_e32 v0, s4
	v_mov_b32_e32 v1, s5
	buffer_wbl2 sc0 sc1
	s_waitcnt vmcnt(0)
	global_atomic_cmpswap_x2 v[0:1], v8, v[0:3], s[26:27] offset:32 sc0 sc1
	s_waitcnt vmcnt(0)
	v_cmp_eq_u64_e32 vcc, v[0:1], v[2:3]
	s_or_b64 s[16:17], vcc, s[16:17]
	v_mov_b64_e32 v[2:3], v[0:1]
	s_andn2_b64 exec, exec, s[16:17]
	s_cbranch_execnz .LBB3_1298
.LBB3_1299:
	s_or_b64 exec, exec, s[10:11]
	v_mov_b32_e32 v3, 0
	global_load_dwordx2 v[0:1], v3, s[26:27] offset:16
	s_mov_b64 s[10:11], exec
	v_mbcnt_lo_u32_b32 v2, s10, 0
	v_mbcnt_hi_u32_b32 v2, s11, v2
	v_cmp_eq_u32_e32 vcc, 0, v2
	s_and_saveexec_b64 s[16:17], vcc
	s_cbranch_execz .LBB3_1301
; %bb.1300:
	s_bcnt1_i32_b64 s10, s[10:11]
	v_mov_b32_e32 v2, s10
	buffer_wbl2 sc0 sc1
	s_waitcnt vmcnt(0)
	global_atomic_add_x2 v[0:1], v[2:3], off offset:8 sc1
.LBB3_1301:
	s_or_b64 exec, exec, s[16:17]
	s_waitcnt vmcnt(0)
	global_load_dwordx2 v[2:3], v[0:1], off offset:16
	s_waitcnt vmcnt(0)
	v_cmp_eq_u64_e32 vcc, 0, v[2:3]
	s_cbranch_vccnz .LBB3_1303
; %bb.1302:
	global_load_dword v0, v[0:1], off offset:24
	v_mov_b32_e32 v1, 0
	buffer_wbl2 sc0 sc1
	s_waitcnt vmcnt(0)
	global_store_dwordx2 v[2:3], v[0:1], off sc0 sc1
	v_and_b32_e32 v0, 0xffffff, v0
	s_nop 0
	v_readfirstlane_b32 m0, v0
	s_sendmsg sendmsg(MSG_INTERRUPT)
.LBB3_1303:
	s_or_b64 exec, exec, s[6:7]
	s_branch .LBB3_1307
.LBB3_1304:                             ;   in Loop: Header=BB3_1307 Depth=1
	s_or_b64 exec, exec, s[6:7]
	v_readfirstlane_b32 s6, v0
	s_cmp_eq_u32 s6, 0
	s_cbranch_scc1 .LBB3_1306
; %bb.1305:                             ;   in Loop: Header=BB3_1307 Depth=1
	s_sleep 1
	s_cbranch_execnz .LBB3_1307
	s_branch .LBB3_1309
.LBB3_1306:
	s_branch .LBB3_1309
.LBB3_1307:                             ; =>This Inner Loop Header: Depth=1
	v_mov_b32_e32 v0, 1
	s_and_saveexec_b64 s[6:7], s[0:1]
	s_cbranch_execz .LBB3_1304
; %bb.1308:                             ;   in Loop: Header=BB3_1307 Depth=1
	global_load_dword v0, v[10:11], off offset:20 sc0 sc1
	s_waitcnt vmcnt(0)
	buffer_inv sc0 sc1
	v_and_b32_e32 v0, 1, v0
	s_branch .LBB3_1304
.LBB3_1309:
	s_and_saveexec_b64 s[6:7], s[0:1]
	s_cbranch_execz .LBB3_1312
; %bb.1310:
	v_mov_b32_e32 v6, 0
	global_load_dwordx2 v[4:5], v6, s[26:27] offset:40
	global_load_dwordx2 v[8:9], v6, s[26:27] offset:24 sc0 sc1
	global_load_dwordx2 v[10:11], v6, s[26:27]
	s_mov_b64 s[0:1], 0
	s_waitcnt vmcnt(2)
	v_lshl_add_u64 v[0:1], v[4:5], 0, 1
	v_lshl_add_u64 v[12:13], v[0:1], 0, s[4:5]
	v_cmp_eq_u64_e32 vcc, 0, v[12:13]
	s_waitcnt vmcnt(1)
	v_mov_b32_e32 v2, v8
	v_cndmask_b32_e32 v1, v13, v1, vcc
	v_cndmask_b32_e32 v0, v12, v0, vcc
	v_and_b32_e32 v3, v1, v5
	v_and_b32_e32 v4, v0, v4
	v_mul_lo_u32 v3, v3, 24
	v_mul_hi_u32 v5, v4, 24
	v_mul_lo_u32 v4, v4, 24
	v_add_u32_e32 v5, v5, v3
	s_waitcnt vmcnt(0)
	v_lshl_add_u64 v[4:5], v[10:11], 0, v[4:5]
	global_store_dwordx2 v[4:5], v[8:9], off
	v_mov_b32_e32 v3, v9
	buffer_wbl2 sc0 sc1
	s_waitcnt vmcnt(0)
	global_atomic_cmpswap_x2 v[2:3], v6, v[0:3], s[26:27] offset:24 sc0 sc1
	s_waitcnt vmcnt(0)
	v_cmp_ne_u64_e32 vcc, v[2:3], v[8:9]
	s_and_b64 exec, exec, vcc
	s_cbranch_execz .LBB3_1312
.LBB3_1311:                             ; =>This Inner Loop Header: Depth=1
	s_sleep 1
	global_store_dwordx2 v[4:5], v[2:3], off
	buffer_wbl2 sc0 sc1
	s_waitcnt vmcnt(0)
	global_atomic_cmpswap_x2 v[8:9], v6, v[0:3], s[26:27] offset:24 sc0 sc1
	s_waitcnt vmcnt(0)
	v_cmp_eq_u64_e32 vcc, v[8:9], v[2:3]
	s_or_b64 s[0:1], vcc, s[0:1]
	v_mov_b64_e32 v[2:3], v[8:9]
	s_andn2_b64 exec, exec, s[0:1]
	s_cbranch_execnz .LBB3_1311
.LBB3_1312:
	s_or_b64 exec, exec, s[6:7]
	v_readfirstlane_b32 s0, v37
	v_mov_b64_e32 v[4:5], 0
	s_nop 0
	v_cmp_eq_u32_e64 s[0:1], s0, v37
	s_and_saveexec_b64 s[4:5], s[0:1]
	s_cbranch_execz .LBB3_1318
; %bb.1313:
	v_mov_b32_e32 v0, 0
	global_load_dwordx2 v[6:7], v0, s[26:27] offset:24 sc0 sc1
	s_waitcnt vmcnt(0)
	buffer_inv sc0 sc1
	global_load_dwordx2 v[2:3], v0, s[26:27] offset:40
	global_load_dwordx2 v[4:5], v0, s[26:27]
	s_waitcnt vmcnt(1)
	v_and_b32_e32 v1, v2, v6
	v_and_b32_e32 v2, v3, v7
	v_mul_lo_u32 v2, v2, 24
	v_mul_hi_u32 v3, v1, 24
	v_add_u32_e32 v3, v3, v2
	v_mul_lo_u32 v2, v1, 24
	s_waitcnt vmcnt(0)
	v_lshl_add_u64 v[2:3], v[4:5], 0, v[2:3]
	global_load_dwordx2 v[4:5], v[2:3], off sc0 sc1
	s_waitcnt vmcnt(0)
	global_atomic_cmpswap_x2 v[4:5], v0, v[4:7], s[26:27] offset:24 sc0 sc1
	s_waitcnt vmcnt(0)
	buffer_inv sc0 sc1
	v_cmp_ne_u64_e32 vcc, v[4:5], v[6:7]
	s_and_saveexec_b64 s[6:7], vcc
	s_cbranch_execz .LBB3_1317
; %bb.1314:
	s_mov_b64 s[10:11], 0
.LBB3_1315:                             ; =>This Inner Loop Header: Depth=1
	s_sleep 1
	global_load_dwordx2 v[2:3], v0, s[26:27] offset:40
	global_load_dwordx2 v[8:9], v0, s[26:27]
	v_mov_b64_e32 v[6:7], v[4:5]
	s_waitcnt vmcnt(1)
	v_and_b32_e32 v2, v2, v6
	v_and_b32_e32 v1, v3, v7
	s_waitcnt vmcnt(0)
	v_mad_u64_u32 v[2:3], s[16:17], v2, 24, v[8:9]
	v_mov_b32_e32 v4, v3
	v_mad_u64_u32 v[4:5], s[16:17], v1, 24, v[4:5]
	v_mov_b32_e32 v3, v4
	global_load_dwordx2 v[4:5], v[2:3], off sc0 sc1
	s_waitcnt vmcnt(0)
	global_atomic_cmpswap_x2 v[4:5], v0, v[4:7], s[26:27] offset:24 sc0 sc1
	s_waitcnt vmcnt(0)
	buffer_inv sc0 sc1
	v_cmp_eq_u64_e32 vcc, v[4:5], v[6:7]
	s_or_b64 s[10:11], vcc, s[10:11]
	s_andn2_b64 exec, exec, s[10:11]
	s_cbranch_execnz .LBB3_1315
; %bb.1316:
	s_or_b64 exec, exec, s[10:11]
.LBB3_1317:
	s_or_b64 exec, exec, s[6:7]
.LBB3_1318:
	s_or_b64 exec, exec, s[4:5]
	v_mov_b32_e32 v49, 0
	global_load_dwordx2 v[6:7], v49, s[26:27] offset:40
	global_load_dwordx4 v[0:3], v49, s[26:27]
	v_readfirstlane_b32 s4, v4
	v_readfirstlane_b32 s5, v5
	s_mov_b64 s[6:7], exec
	s_waitcnt vmcnt(1)
	v_readfirstlane_b32 s10, v6
	v_readfirstlane_b32 s11, v7
	s_and_b64 s[10:11], s[4:5], s[10:11]
	s_mul_i32 s15, s11, 24
	s_mul_hi_u32 s16, s10, 24
	s_add_i32 s17, s16, s15
	s_mul_i32 s16, s10, 24
	s_waitcnt vmcnt(0)
	v_lshl_add_u64 v[4:5], v[0:1], 0, s[16:17]
	s_and_saveexec_b64 s[16:17], s[0:1]
	s_cbranch_execz .LBB3_1320
; %bb.1319:
	v_mov_b64_e32 v[6:7], s[6:7]
	v_mov_b32_e32 v8, 2
	v_mov_b32_e32 v9, 1
	global_store_dwordx4 v[4:5], v[6:9], off offset:8
.LBB3_1320:
	s_or_b64 exec, exec, s[16:17]
	s_lshl_b64 s[6:7], s[10:11], 12
	v_lshl_add_u64 v[6:7], v[2:3], 0, s[6:7]
	s_mov_b32 s36, 0
	v_mov_b32_e32 v8, 33
	v_mov_b32_e32 v9, v49
	;; [unrolled: 1-line block ×4, first 2 shown]
	v_readfirstlane_b32 s6, v6
	v_readfirstlane_b32 s7, v7
	s_mov_b32 s37, s36
	s_mov_b32 s38, s36
	;; [unrolled: 1-line block ×3, first 2 shown]
	s_nop 1
	global_store_dwordx4 v48, v[8:11], s[6:7]
	s_nop 1
	v_mov_b64_e32 v[8:9], s[36:37]
	v_mov_b64_e32 v[10:11], s[38:39]
	global_store_dwordx4 v48, v[8:11], s[6:7] offset:16
	global_store_dwordx4 v48, v[8:11], s[6:7] offset:32
	;; [unrolled: 1-line block ×3, first 2 shown]
	s_and_saveexec_b64 s[6:7], s[0:1]
	s_cbranch_execz .LBB3_1328
; %bb.1321:
	v_mov_b32_e32 v10, 0
	global_load_dwordx2 v[14:15], v10, s[26:27] offset:32 sc0 sc1
	global_load_dwordx2 v[2:3], v10, s[26:27] offset:40
	v_mov_b32_e32 v12, s4
	v_mov_b32_e32 v13, s5
	s_waitcnt vmcnt(0)
	v_readfirstlane_b32 s10, v2
	v_readfirstlane_b32 s11, v3
	s_and_b64 s[10:11], s[10:11], s[4:5]
	s_mul_i32 s11, s11, 24
	s_mul_hi_u32 s15, s10, 24
	s_mul_i32 s10, s10, 24
	s_add_i32 s11, s15, s11
	v_lshl_add_u64 v[8:9], v[0:1], 0, s[10:11]
	global_store_dwordx2 v[8:9], v[14:15], off
	buffer_wbl2 sc0 sc1
	s_waitcnt vmcnt(0)
	global_atomic_cmpswap_x2 v[2:3], v10, v[12:15], s[26:27] offset:32 sc0 sc1
	s_waitcnt vmcnt(0)
	v_cmp_ne_u64_e32 vcc, v[2:3], v[14:15]
	s_and_saveexec_b64 s[10:11], vcc
	s_cbranch_execz .LBB3_1324
; %bb.1322:
	s_mov_b64 s[16:17], 0
.LBB3_1323:                             ; =>This Inner Loop Header: Depth=1
	s_sleep 1
	global_store_dwordx2 v[8:9], v[2:3], off
	v_mov_b32_e32 v0, s4
	v_mov_b32_e32 v1, s5
	buffer_wbl2 sc0 sc1
	s_waitcnt vmcnt(0)
	global_atomic_cmpswap_x2 v[0:1], v10, v[0:3], s[26:27] offset:32 sc0 sc1
	s_waitcnt vmcnt(0)
	v_cmp_eq_u64_e32 vcc, v[0:1], v[2:3]
	s_or_b64 s[16:17], vcc, s[16:17]
	v_mov_b64_e32 v[2:3], v[0:1]
	s_andn2_b64 exec, exec, s[16:17]
	s_cbranch_execnz .LBB3_1323
.LBB3_1324:
	s_or_b64 exec, exec, s[10:11]
	v_mov_b32_e32 v3, 0
	global_load_dwordx2 v[0:1], v3, s[26:27] offset:16
	s_mov_b64 s[10:11], exec
	v_mbcnt_lo_u32_b32 v2, s10, 0
	v_mbcnt_hi_u32_b32 v2, s11, v2
	v_cmp_eq_u32_e32 vcc, 0, v2
	s_and_saveexec_b64 s[16:17], vcc
	s_cbranch_execz .LBB3_1326
; %bb.1325:
	s_bcnt1_i32_b64 s10, s[10:11]
	v_mov_b32_e32 v2, s10
	buffer_wbl2 sc0 sc1
	s_waitcnt vmcnt(0)
	global_atomic_add_x2 v[0:1], v[2:3], off offset:8 sc1
.LBB3_1326:
	s_or_b64 exec, exec, s[16:17]
	s_waitcnt vmcnt(0)
	global_load_dwordx2 v[2:3], v[0:1], off offset:16
	s_waitcnt vmcnt(0)
	v_cmp_eq_u64_e32 vcc, 0, v[2:3]
	s_cbranch_vccnz .LBB3_1328
; %bb.1327:
	global_load_dword v0, v[0:1], off offset:24
	v_mov_b32_e32 v1, 0
	buffer_wbl2 sc0 sc1
	s_waitcnt vmcnt(0)
	global_store_dwordx2 v[2:3], v[0:1], off sc0 sc1
	v_and_b32_e32 v0, 0xffffff, v0
	s_nop 0
	v_readfirstlane_b32 m0, v0
	s_sendmsg sendmsg(MSG_INTERRUPT)
.LBB3_1328:
	s_or_b64 exec, exec, s[6:7]
	v_lshl_add_u64 v[0:1], v[6:7], 0, v[48:49]
	s_branch .LBB3_1332
.LBB3_1329:                             ;   in Loop: Header=BB3_1332 Depth=1
	s_or_b64 exec, exec, s[6:7]
	v_readfirstlane_b32 s6, v2
	s_cmp_eq_u32 s6, 0
	s_cbranch_scc1 .LBB3_1331
; %bb.1330:                             ;   in Loop: Header=BB3_1332 Depth=1
	s_sleep 1
	s_cbranch_execnz .LBB3_1332
	s_branch .LBB3_1334
.LBB3_1331:
	s_branch .LBB3_1334
.LBB3_1332:                             ; =>This Inner Loop Header: Depth=1
	v_mov_b32_e32 v2, 1
	s_and_saveexec_b64 s[6:7], s[0:1]
	s_cbranch_execz .LBB3_1329
; %bb.1333:                             ;   in Loop: Header=BB3_1332 Depth=1
	global_load_dword v2, v[4:5], off offset:20 sc0 sc1
	s_waitcnt vmcnt(0)
	buffer_inv sc0 sc1
	v_and_b32_e32 v2, 1, v2
	s_branch .LBB3_1329
.LBB3_1334:
	global_load_dwordx2 v[4:5], v[0:1], off
	s_and_saveexec_b64 s[6:7], s[0:1]
	s_cbranch_execz .LBB3_1337
; %bb.1335:
	v_mov_b32_e32 v8, 0
	global_load_dwordx2 v[6:7], v8, s[26:27] offset:40
	global_load_dwordx2 v[10:11], v8, s[26:27] offset:24 sc0 sc1
	global_load_dwordx2 v[12:13], v8, s[26:27]
	s_mov_b64 s[0:1], 0
	s_waitcnt vmcnt(2)
	v_lshl_add_u64 v[0:1], v[6:7], 0, 1
	v_lshl_add_u64 v[14:15], v[0:1], 0, s[4:5]
	v_cmp_eq_u64_e32 vcc, 0, v[14:15]
	s_waitcnt vmcnt(1)
	v_mov_b32_e32 v2, v10
	v_cndmask_b32_e32 v1, v15, v1, vcc
	v_cndmask_b32_e32 v0, v14, v0, vcc
	v_and_b32_e32 v3, v1, v7
	v_and_b32_e32 v6, v0, v6
	v_mul_lo_u32 v3, v3, 24
	v_mul_hi_u32 v7, v6, 24
	v_mul_lo_u32 v6, v6, 24
	v_add_u32_e32 v7, v7, v3
	s_waitcnt vmcnt(0)
	v_lshl_add_u64 v[6:7], v[12:13], 0, v[6:7]
	global_store_dwordx2 v[6:7], v[10:11], off
	v_mov_b32_e32 v3, v11
	buffer_wbl2 sc0 sc1
	s_waitcnt vmcnt(0)
	global_atomic_cmpswap_x2 v[2:3], v8, v[0:3], s[26:27] offset:24 sc0 sc1
	s_waitcnt vmcnt(0)
	v_cmp_ne_u64_e32 vcc, v[2:3], v[10:11]
	s_and_b64 exec, exec, vcc
	s_cbranch_execz .LBB3_1337
.LBB3_1336:                             ; =>This Inner Loop Header: Depth=1
	s_sleep 1
	global_store_dwordx2 v[6:7], v[2:3], off
	buffer_wbl2 sc0 sc1
	s_waitcnt vmcnt(0)
	global_atomic_cmpswap_x2 v[10:11], v8, v[0:3], s[26:27] offset:24 sc0 sc1
	s_waitcnt vmcnt(0)
	v_cmp_eq_u64_e32 vcc, v[10:11], v[2:3]
	s_or_b64 s[0:1], vcc, s[0:1]
	v_mov_b64_e32 v[2:3], v[10:11]
	s_andn2_b64 exec, exec, s[0:1]
	s_cbranch_execnz .LBB3_1336
.LBB3_1337:
	s_or_b64 exec, exec, s[6:7]
	s_and_b64 vcc, exec, s[2:3]
	s_cbranch_vccz .LBB3_1422
; %bb.1338:
	s_waitcnt vmcnt(0)
	v_and_b32_e32 v26, 2, v4
	v_mov_b32_e32 v29, 0
	v_and_b32_e32 v0, -3, v4
	v_mov_b32_e32 v1, v5
	s_mov_b64 s[4:5], 3
	v_mov_b32_e32 v8, 2
	v_mov_b32_e32 v9, 1
	s_getpc_b64 s[2:3]
	s_add_u32 s2, s2, .str.5@rel32@lo+4
	s_addc_u32 s3, s3, .str.5@rel32@hi+12
	s_branch .LBB3_1340
.LBB3_1339:                             ;   in Loop: Header=BB3_1340 Depth=1
	s_or_b64 exec, exec, s[16:17]
	s_sub_u32 s4, s4, s6
	s_subb_u32 s5, s5, s7
	s_add_u32 s2, s2, s6
	s_addc_u32 s3, s3, s7
	s_cmp_lg_u64 s[4:5], 0
	s_cbranch_scc0 .LBB3_1421
.LBB3_1340:                             ; =>This Loop Header: Depth=1
                                        ;     Child Loop BB3_1343 Depth 2
                                        ;     Child Loop BB3_1350 Depth 2
	;; [unrolled: 1-line block ×11, first 2 shown]
	v_cmp_lt_u64_e64 s[0:1], s[4:5], 56
	s_and_b64 s[0:1], s[0:1], exec
	v_cmp_gt_u64_e64 s[0:1], s[4:5], 7
	s_cselect_b32 s7, s5, 0
	s_cselect_b32 s6, s4, 56
	s_and_b64 vcc, exec, s[0:1]
	s_cbranch_vccnz .LBB3_1345
; %bb.1341:                             ;   in Loop: Header=BB3_1340 Depth=1
	s_mov_b64 s[0:1], 0
	s_cmp_eq_u64 s[4:5], 0
	s_waitcnt vmcnt(0)
	v_mov_b64_e32 v[2:3], 0
	s_cbranch_scc1 .LBB3_1344
; %bb.1342:                             ;   in Loop: Header=BB3_1340 Depth=1
	s_lshl_b64 s[10:11], s[6:7], 3
	s_mov_b64 s[16:17], 0
	v_mov_b64_e32 v[2:3], 0
	s_mov_b64 s[20:21], s[2:3]
.LBB3_1343:                             ;   Parent Loop BB3_1340 Depth=1
                                        ; =>  This Inner Loop Header: Depth=2
	global_load_ubyte v6, v29, s[20:21]
	s_waitcnt vmcnt(0)
	v_and_b32_e32 v28, 0xffff, v6
	v_lshlrev_b64 v[6:7], s16, v[28:29]
	s_add_u32 s16, s16, 8
	s_addc_u32 s17, s17, 0
	s_add_u32 s20, s20, 1
	s_addc_u32 s21, s21, 0
	v_or_b32_e32 v2, v6, v2
	s_cmp_lg_u32 s10, s16
	v_or_b32_e32 v3, v7, v3
	s_cbranch_scc1 .LBB3_1343
.LBB3_1344:                             ;   in Loop: Header=BB3_1340 Depth=1
	s_mov_b32 s15, 0
	s_andn2_b64 vcc, exec, s[0:1]
	s_mov_b64 s[0:1], s[2:3]
	s_cbranch_vccz .LBB3_1346
	s_branch .LBB3_1347
.LBB3_1345:                             ;   in Loop: Header=BB3_1340 Depth=1
                                        ; implicit-def: $vgpr2_vgpr3
                                        ; implicit-def: $sgpr15
	s_mov_b64 s[0:1], s[2:3]
.LBB3_1346:                             ;   in Loop: Header=BB3_1340 Depth=1
	global_load_dwordx2 v[2:3], v29, s[2:3]
	s_add_i32 s15, s6, -8
	s_add_u32 s0, s2, 8
	s_addc_u32 s1, s3, 0
.LBB3_1347:                             ;   in Loop: Header=BB3_1340 Depth=1
	s_cmp_gt_u32 s15, 7
	s_cbranch_scc1 .LBB3_1351
; %bb.1348:                             ;   in Loop: Header=BB3_1340 Depth=1
	s_cmp_eq_u32 s15, 0
	s_cbranch_scc1 .LBB3_1352
; %bb.1349:                             ;   in Loop: Header=BB3_1340 Depth=1
	s_mov_b64 s[10:11], 0
	v_mov_b64_e32 v[10:11], 0
	s_mov_b64 s[16:17], 0
.LBB3_1350:                             ;   Parent Loop BB3_1340 Depth=1
                                        ; =>  This Inner Loop Header: Depth=2
	s_add_u32 s20, s0, s16
	s_addc_u32 s21, s1, s17
	global_load_ubyte v6, v29, s[20:21]
	s_add_u32 s16, s16, 1
	s_addc_u32 s17, s17, 0
	s_waitcnt vmcnt(0)
	v_and_b32_e32 v28, 0xffff, v6
	v_lshlrev_b64 v[6:7], s10, v[28:29]
	s_add_u32 s10, s10, 8
	s_addc_u32 s11, s11, 0
	v_or_b32_e32 v10, v6, v10
	s_cmp_lg_u32 s15, s16
	v_or_b32_e32 v11, v7, v11
	s_cbranch_scc1 .LBB3_1350
	s_branch .LBB3_1353
.LBB3_1351:                             ;   in Loop: Header=BB3_1340 Depth=1
                                        ; implicit-def: $vgpr10_vgpr11
                                        ; implicit-def: $sgpr20
	s_branch .LBB3_1354
.LBB3_1352:                             ;   in Loop: Header=BB3_1340 Depth=1
	v_mov_b64_e32 v[10:11], 0
.LBB3_1353:                             ;   in Loop: Header=BB3_1340 Depth=1
	s_mov_b32 s20, 0
	s_cbranch_execnz .LBB3_1355
.LBB3_1354:                             ;   in Loop: Header=BB3_1340 Depth=1
	global_load_dwordx2 v[10:11], v29, s[0:1]
	s_add_i32 s20, s15, -8
	s_add_u32 s0, s0, 8
	s_addc_u32 s1, s1, 0
.LBB3_1355:                             ;   in Loop: Header=BB3_1340 Depth=1
	s_cmp_gt_u32 s20, 7
	s_cbranch_scc1 .LBB3_1359
; %bb.1356:                             ;   in Loop: Header=BB3_1340 Depth=1
	s_cmp_eq_u32 s20, 0
	s_cbranch_scc1 .LBB3_1360
; %bb.1357:                             ;   in Loop: Header=BB3_1340 Depth=1
	s_mov_b64 s[10:11], 0
	v_mov_b64_e32 v[12:13], 0
	s_mov_b64 s[16:17], 0
.LBB3_1358:                             ;   Parent Loop BB3_1340 Depth=1
                                        ; =>  This Inner Loop Header: Depth=2
	s_add_u32 vcc_lo, s0, s16
	s_addc_u32 vcc_hi, s1, s17
	global_load_ubyte v6, v29, vcc
	s_add_u32 s16, s16, 1
	s_addc_u32 s17, s17, 0
	s_waitcnt vmcnt(0)
	v_and_b32_e32 v28, 0xffff, v6
	v_lshlrev_b64 v[6:7], s10, v[28:29]
	s_add_u32 s10, s10, 8
	s_addc_u32 s11, s11, 0
	v_or_b32_e32 v12, v6, v12
	s_cmp_lg_u32 s20, s16
	v_or_b32_e32 v13, v7, v13
	s_cbranch_scc1 .LBB3_1358
	s_branch .LBB3_1361
.LBB3_1359:                             ;   in Loop: Header=BB3_1340 Depth=1
                                        ; implicit-def: $sgpr15
	s_branch .LBB3_1362
.LBB3_1360:                             ;   in Loop: Header=BB3_1340 Depth=1
	v_mov_b64_e32 v[12:13], 0
.LBB3_1361:                             ;   in Loop: Header=BB3_1340 Depth=1
	s_mov_b32 s15, 0
	s_cbranch_execnz .LBB3_1363
.LBB3_1362:                             ;   in Loop: Header=BB3_1340 Depth=1
	global_load_dwordx2 v[12:13], v29, s[0:1]
	s_add_i32 s15, s20, -8
	s_add_u32 s0, s0, 8
	s_addc_u32 s1, s1, 0
.LBB3_1363:                             ;   in Loop: Header=BB3_1340 Depth=1
	s_cmp_gt_u32 s15, 7
	s_cbranch_scc1 .LBB3_1367
; %bb.1364:                             ;   in Loop: Header=BB3_1340 Depth=1
	s_cmp_eq_u32 s15, 0
	s_cbranch_scc1 .LBB3_1368
; %bb.1365:                             ;   in Loop: Header=BB3_1340 Depth=1
	s_mov_b64 s[10:11], 0
	v_mov_b64_e32 v[14:15], 0
	s_mov_b64 s[16:17], 0
.LBB3_1366:                             ;   Parent Loop BB3_1340 Depth=1
                                        ; =>  This Inner Loop Header: Depth=2
	s_add_u32 s20, s0, s16
	s_addc_u32 s21, s1, s17
	global_load_ubyte v6, v29, s[20:21]
	s_add_u32 s16, s16, 1
	s_addc_u32 s17, s17, 0
	s_waitcnt vmcnt(0)
	v_and_b32_e32 v28, 0xffff, v6
	v_lshlrev_b64 v[6:7], s10, v[28:29]
	s_add_u32 s10, s10, 8
	s_addc_u32 s11, s11, 0
	v_or_b32_e32 v14, v6, v14
	s_cmp_lg_u32 s15, s16
	v_or_b32_e32 v15, v7, v15
	s_cbranch_scc1 .LBB3_1366
	s_branch .LBB3_1369
.LBB3_1367:                             ;   in Loop: Header=BB3_1340 Depth=1
                                        ; implicit-def: $vgpr14_vgpr15
                                        ; implicit-def: $sgpr20
	s_branch .LBB3_1370
.LBB3_1368:                             ;   in Loop: Header=BB3_1340 Depth=1
	v_mov_b64_e32 v[14:15], 0
.LBB3_1369:                             ;   in Loop: Header=BB3_1340 Depth=1
	s_mov_b32 s20, 0
	s_cbranch_execnz .LBB3_1371
.LBB3_1370:                             ;   in Loop: Header=BB3_1340 Depth=1
	global_load_dwordx2 v[14:15], v29, s[0:1]
	s_add_i32 s20, s15, -8
	s_add_u32 s0, s0, 8
	s_addc_u32 s1, s1, 0
.LBB3_1371:                             ;   in Loop: Header=BB3_1340 Depth=1
	s_cmp_gt_u32 s20, 7
	s_cbranch_scc1 .LBB3_1375
; %bb.1372:                             ;   in Loop: Header=BB3_1340 Depth=1
	s_cmp_eq_u32 s20, 0
	s_cbranch_scc1 .LBB3_1376
; %bb.1373:                             ;   in Loop: Header=BB3_1340 Depth=1
	s_mov_b64 s[10:11], 0
	v_mov_b64_e32 v[16:17], 0
	s_mov_b64 s[16:17], 0
.LBB3_1374:                             ;   Parent Loop BB3_1340 Depth=1
                                        ; =>  This Inner Loop Header: Depth=2
	s_add_u32 vcc_lo, s0, s16
	s_addc_u32 vcc_hi, s1, s17
	global_load_ubyte v6, v29, vcc
	s_add_u32 s16, s16, 1
	s_addc_u32 s17, s17, 0
	s_waitcnt vmcnt(0)
	v_and_b32_e32 v28, 0xffff, v6
	v_lshlrev_b64 v[6:7], s10, v[28:29]
	s_add_u32 s10, s10, 8
	s_addc_u32 s11, s11, 0
	v_or_b32_e32 v16, v6, v16
	s_cmp_lg_u32 s20, s16
	v_or_b32_e32 v17, v7, v17
	s_cbranch_scc1 .LBB3_1374
	s_branch .LBB3_1377
.LBB3_1375:                             ;   in Loop: Header=BB3_1340 Depth=1
                                        ; implicit-def: $sgpr15
	s_branch .LBB3_1378
.LBB3_1376:                             ;   in Loop: Header=BB3_1340 Depth=1
	v_mov_b64_e32 v[16:17], 0
.LBB3_1377:                             ;   in Loop: Header=BB3_1340 Depth=1
	s_mov_b32 s15, 0
	s_cbranch_execnz .LBB3_1379
.LBB3_1378:                             ;   in Loop: Header=BB3_1340 Depth=1
	global_load_dwordx2 v[16:17], v29, s[0:1]
	s_add_i32 s15, s20, -8
	s_add_u32 s0, s0, 8
	s_addc_u32 s1, s1, 0
.LBB3_1379:                             ;   in Loop: Header=BB3_1340 Depth=1
	s_cmp_gt_u32 s15, 7
	s_cbranch_scc1 .LBB3_1383
; %bb.1380:                             ;   in Loop: Header=BB3_1340 Depth=1
	s_cmp_eq_u32 s15, 0
	s_cbranch_scc1 .LBB3_1384
; %bb.1381:                             ;   in Loop: Header=BB3_1340 Depth=1
	s_mov_b64 s[10:11], 0
	v_mov_b64_e32 v[18:19], 0
	s_mov_b64 s[16:17], 0
.LBB3_1382:                             ;   Parent Loop BB3_1340 Depth=1
                                        ; =>  This Inner Loop Header: Depth=2
	s_add_u32 s20, s0, s16
	s_addc_u32 s21, s1, s17
	global_load_ubyte v6, v29, s[20:21]
	s_add_u32 s16, s16, 1
	s_addc_u32 s17, s17, 0
	s_waitcnt vmcnt(0)
	v_and_b32_e32 v28, 0xffff, v6
	v_lshlrev_b64 v[6:7], s10, v[28:29]
	s_add_u32 s10, s10, 8
	s_addc_u32 s11, s11, 0
	v_or_b32_e32 v18, v6, v18
	s_cmp_lg_u32 s15, s16
	v_or_b32_e32 v19, v7, v19
	s_cbranch_scc1 .LBB3_1382
	s_branch .LBB3_1385
.LBB3_1383:                             ;   in Loop: Header=BB3_1340 Depth=1
                                        ; implicit-def: $vgpr18_vgpr19
                                        ; implicit-def: $sgpr20
	s_branch .LBB3_1386
.LBB3_1384:                             ;   in Loop: Header=BB3_1340 Depth=1
	v_mov_b64_e32 v[18:19], 0
.LBB3_1385:                             ;   in Loop: Header=BB3_1340 Depth=1
	s_mov_b32 s20, 0
	s_cbranch_execnz .LBB3_1387
.LBB3_1386:                             ;   in Loop: Header=BB3_1340 Depth=1
	global_load_dwordx2 v[18:19], v29, s[0:1]
	s_add_i32 s20, s15, -8
	s_add_u32 s0, s0, 8
	s_addc_u32 s1, s1, 0
.LBB3_1387:                             ;   in Loop: Header=BB3_1340 Depth=1
	s_cmp_gt_u32 s20, 7
	s_cbranch_scc1 .LBB3_1391
; %bb.1388:                             ;   in Loop: Header=BB3_1340 Depth=1
	s_cmp_eq_u32 s20, 0
	s_cbranch_scc1 .LBB3_1392
; %bb.1389:                             ;   in Loop: Header=BB3_1340 Depth=1
	s_mov_b64 s[10:11], 0
	v_mov_b64_e32 v[20:21], 0
	s_mov_b64 s[16:17], s[0:1]
.LBB3_1390:                             ;   Parent Loop BB3_1340 Depth=1
                                        ; =>  This Inner Loop Header: Depth=2
	global_load_ubyte v6, v29, s[16:17]
	s_add_i32 s20, s20, -1
	s_waitcnt vmcnt(0)
	v_and_b32_e32 v28, 0xffff, v6
	v_lshlrev_b64 v[6:7], s10, v[28:29]
	s_add_u32 s10, s10, 8
	s_addc_u32 s11, s11, 0
	s_add_u32 s16, s16, 1
	s_addc_u32 s17, s17, 0
	v_or_b32_e32 v20, v6, v20
	s_cmp_lg_u32 s20, 0
	v_or_b32_e32 v21, v7, v21
	s_cbranch_scc1 .LBB3_1390
	s_branch .LBB3_1393
.LBB3_1391:                             ;   in Loop: Header=BB3_1340 Depth=1
	s_branch .LBB3_1394
.LBB3_1392:                             ;   in Loop: Header=BB3_1340 Depth=1
	v_mov_b64_e32 v[20:21], 0
.LBB3_1393:                             ;   in Loop: Header=BB3_1340 Depth=1
	s_cbranch_execnz .LBB3_1395
.LBB3_1394:                             ;   in Loop: Header=BB3_1340 Depth=1
	global_load_dwordx2 v[20:21], v29, s[0:1]
.LBB3_1395:                             ;   in Loop: Header=BB3_1340 Depth=1
	v_readfirstlane_b32 s0, v37
	v_mov_b64_e32 v[6:7], 0
	s_nop 0
	v_cmp_eq_u32_e64 s[0:1], s0, v37
	s_and_saveexec_b64 s[10:11], s[0:1]
	s_cbranch_execz .LBB3_1401
; %bb.1396:                             ;   in Loop: Header=BB3_1340 Depth=1
	global_load_dwordx2 v[24:25], v29, s[26:27] offset:24 sc0 sc1
	s_waitcnt vmcnt(0)
	buffer_inv sc0 sc1
	global_load_dwordx2 v[6:7], v29, s[26:27] offset:40
	global_load_dwordx2 v[22:23], v29, s[26:27]
	s_waitcnt vmcnt(1)
	v_and_b32_e32 v6, v6, v24
	v_and_b32_e32 v7, v7, v25
	v_mul_lo_u32 v7, v7, 24
	v_mul_hi_u32 v27, v6, 24
	v_add_u32_e32 v7, v27, v7
	v_mul_lo_u32 v6, v6, 24
	s_waitcnt vmcnt(0)
	v_lshl_add_u64 v[6:7], v[22:23], 0, v[6:7]
	global_load_dwordx2 v[22:23], v[6:7], off sc0 sc1
	s_waitcnt vmcnt(0)
	global_atomic_cmpswap_x2 v[6:7], v29, v[22:25], s[26:27] offset:24 sc0 sc1
	s_waitcnt vmcnt(0)
	buffer_inv sc0 sc1
	v_cmp_ne_u64_e32 vcc, v[6:7], v[24:25]
	s_and_saveexec_b64 s[16:17], vcc
	s_cbranch_execz .LBB3_1400
; %bb.1397:                             ;   in Loop: Header=BB3_1340 Depth=1
	s_mov_b64 s[20:21], 0
.LBB3_1398:                             ;   Parent Loop BB3_1340 Depth=1
                                        ; =>  This Inner Loop Header: Depth=2
	s_sleep 1
	global_load_dwordx2 v[22:23], v29, s[26:27] offset:40
	global_load_dwordx2 v[30:31], v29, s[26:27]
	v_mov_b64_e32 v[24:25], v[6:7]
	s_waitcnt vmcnt(1)
	v_and_b32_e32 v6, v22, v24
	s_waitcnt vmcnt(0)
	v_mad_u64_u32 v[6:7], vcc, v6, 24, v[30:31]
	v_and_b32_e32 v23, v23, v25
	v_mov_b32_e32 v22, v7
	v_mad_u64_u32 v[22:23], vcc, v23, 24, v[22:23]
	v_mov_b32_e32 v7, v22
	global_load_dwordx2 v[22:23], v[6:7], off sc0 sc1
	s_waitcnt vmcnt(0)
	global_atomic_cmpswap_x2 v[6:7], v29, v[22:25], s[26:27] offset:24 sc0 sc1
	s_waitcnt vmcnt(0)
	buffer_inv sc0 sc1
	v_cmp_eq_u64_e32 vcc, v[6:7], v[24:25]
	s_or_b64 s[20:21], vcc, s[20:21]
	s_andn2_b64 exec, exec, s[20:21]
	s_cbranch_execnz .LBB3_1398
; %bb.1399:                             ;   in Loop: Header=BB3_1340 Depth=1
	s_or_b64 exec, exec, s[20:21]
.LBB3_1400:                             ;   in Loop: Header=BB3_1340 Depth=1
	s_or_b64 exec, exec, s[16:17]
.LBB3_1401:                             ;   in Loop: Header=BB3_1340 Depth=1
	s_or_b64 exec, exec, s[10:11]
	global_load_dwordx2 v[30:31], v29, s[26:27] offset:40
	global_load_dwordx4 v[22:25], v29, s[26:27]
	v_readfirstlane_b32 s10, v6
	v_readfirstlane_b32 s11, v7
	s_mov_b64 s[16:17], exec
	s_waitcnt vmcnt(1)
	v_readfirstlane_b32 s20, v30
	v_readfirstlane_b32 s21, v31
	s_and_b64 s[20:21], s[10:11], s[20:21]
	s_mul_i32 s15, s21, 24
	s_mul_hi_u32 vcc_lo, s20, 24
	s_add_i32 vcc_hi, vcc_lo, s15
	s_mul_i32 vcc_lo, s20, 24
	s_waitcnt vmcnt(0)
	v_lshl_add_u64 v[30:31], v[22:23], 0, vcc
	s_and_saveexec_b64 vcc, s[0:1]
	s_cbranch_execz .LBB3_1403
; %bb.1402:                             ;   in Loop: Header=BB3_1340 Depth=1
	v_mov_b64_e32 v[6:7], s[16:17]
	global_store_dwordx4 v[30:31], v[6:9], off offset:8
.LBB3_1403:                             ;   in Loop: Header=BB3_1340 Depth=1
	s_or_b64 exec, exec, vcc
	s_lshl_b64 s[16:17], s[20:21], 12
	v_lshl_add_u64 v[6:7], v[24:25], 0, s[16:17]
	v_or_b32_e32 v25, v0, v26
	v_cmp_gt_u64_e64 vcc, s[4:5], 56
	s_lshl_b32 s15, s6, 2
	s_add_i32 s15, s15, 28
	v_cndmask_b32_e32 v0, v25, v0, vcc
	v_or_b32_e32 v24, 0, v1
	s_and_b32 s15, s15, 0x1e0
	v_and_b32_e32 v0, 0xffffff1f, v0
	v_cndmask_b32_e32 v1, v24, v1, vcc
	v_or_b32_e32 v0, s15, v0
	v_readfirstlane_b32 s16, v6
	v_readfirstlane_b32 s17, v7
	s_nop 4
	global_store_dwordx4 v48, v[0:3], s[16:17]
	global_store_dwordx4 v48, v[10:13], s[16:17] offset:16
	global_store_dwordx4 v48, v[14:17], s[16:17] offset:32
	;; [unrolled: 1-line block ×3, first 2 shown]
	s_and_saveexec_b64 s[16:17], s[0:1]
	s_cbranch_execz .LBB3_1411
; %bb.1404:                             ;   in Loop: Header=BB3_1340 Depth=1
	global_load_dwordx2 v[14:15], v29, s[26:27] offset:32 sc0 sc1
	global_load_dwordx2 v[0:1], v29, s[26:27] offset:40
	v_mov_b32_e32 v12, s10
	v_mov_b32_e32 v13, s11
	s_waitcnt vmcnt(0)
	v_readfirstlane_b32 s20, v0
	v_readfirstlane_b32 s21, v1
	s_and_b64 s[20:21], s[20:21], s[10:11]
	s_mul_i32 s15, s21, 24
	s_mul_hi_u32 s21, s20, 24
	s_mul_i32 s20, s20, 24
	s_add_i32 s21, s21, s15
	v_lshl_add_u64 v[10:11], v[22:23], 0, s[20:21]
	global_store_dwordx2 v[10:11], v[14:15], off
	buffer_wbl2 sc0 sc1
	s_waitcnt vmcnt(0)
	global_atomic_cmpswap_x2 v[2:3], v29, v[12:15], s[26:27] offset:32 sc0 sc1
	s_waitcnt vmcnt(0)
	v_cmp_ne_u64_e32 vcc, v[2:3], v[14:15]
	s_and_saveexec_b64 s[20:21], vcc
	s_cbranch_execz .LBB3_1407
; %bb.1405:                             ;   in Loop: Header=BB3_1340 Depth=1
	s_mov_b64 s[30:31], 0
.LBB3_1406:                             ;   Parent Loop BB3_1340 Depth=1
                                        ; =>  This Inner Loop Header: Depth=2
	s_sleep 1
	global_store_dwordx2 v[10:11], v[2:3], off
	v_mov_b32_e32 v0, s10
	v_mov_b32_e32 v1, s11
	buffer_wbl2 sc0 sc1
	s_waitcnt vmcnt(0)
	global_atomic_cmpswap_x2 v[0:1], v29, v[0:3], s[26:27] offset:32 sc0 sc1
	s_waitcnt vmcnt(0)
	v_cmp_eq_u64_e32 vcc, v[0:1], v[2:3]
	s_or_b64 s[30:31], vcc, s[30:31]
	v_mov_b64_e32 v[2:3], v[0:1]
	s_andn2_b64 exec, exec, s[30:31]
	s_cbranch_execnz .LBB3_1406
.LBB3_1407:                             ;   in Loop: Header=BB3_1340 Depth=1
	s_or_b64 exec, exec, s[20:21]
	global_load_dwordx2 v[0:1], v29, s[26:27] offset:16
	s_mov_b64 s[30:31], exec
	v_mbcnt_lo_u32_b32 v2, s30, 0
	v_mbcnt_hi_u32_b32 v2, s31, v2
	v_cmp_eq_u32_e32 vcc, 0, v2
	s_and_saveexec_b64 s[20:21], vcc
	s_cbranch_execz .LBB3_1409
; %bb.1408:                             ;   in Loop: Header=BB3_1340 Depth=1
	s_bcnt1_i32_b64 s15, s[30:31]
	v_mov_b32_e32 v28, s15
	buffer_wbl2 sc0 sc1
	s_waitcnt vmcnt(0)
	global_atomic_add_x2 v[0:1], v[28:29], off offset:8 sc1
.LBB3_1409:                             ;   in Loop: Header=BB3_1340 Depth=1
	s_or_b64 exec, exec, s[20:21]
	s_waitcnt vmcnt(0)
	global_load_dwordx2 v[2:3], v[0:1], off offset:16
	s_waitcnt vmcnt(0)
	v_cmp_eq_u64_e32 vcc, 0, v[2:3]
	s_cbranch_vccnz .LBB3_1411
; %bb.1410:                             ;   in Loop: Header=BB3_1340 Depth=1
	global_load_dword v28, v[0:1], off offset:24
	s_waitcnt vmcnt(0)
	v_and_b32_e32 v0, 0xffffff, v28
	s_nop 0
	v_readfirstlane_b32 m0, v0
	buffer_wbl2 sc0 sc1
	global_store_dwordx2 v[2:3], v[28:29], off sc0 sc1
	s_sendmsg sendmsg(MSG_INTERRUPT)
.LBB3_1411:                             ;   in Loop: Header=BB3_1340 Depth=1
	s_or_b64 exec, exec, s[16:17]
	v_mov_b32_e32 v49, v29
	v_lshl_add_u64 v[0:1], v[6:7], 0, v[48:49]
	s_branch .LBB3_1415
.LBB3_1412:                             ;   in Loop: Header=BB3_1415 Depth=2
	s_or_b64 exec, exec, s[16:17]
	v_readfirstlane_b32 s15, v2
	s_cmp_eq_u32 s15, 0
	s_cbranch_scc1 .LBB3_1414
; %bb.1413:                             ;   in Loop: Header=BB3_1415 Depth=2
	s_sleep 1
	s_cbranch_execnz .LBB3_1415
	s_branch .LBB3_1417
.LBB3_1414:                             ;   in Loop: Header=BB3_1340 Depth=1
	s_branch .LBB3_1417
.LBB3_1415:                             ;   Parent Loop BB3_1340 Depth=1
                                        ; =>  This Inner Loop Header: Depth=2
	v_mov_b32_e32 v2, 1
	s_and_saveexec_b64 s[16:17], s[0:1]
	s_cbranch_execz .LBB3_1412
; %bb.1416:                             ;   in Loop: Header=BB3_1415 Depth=2
	global_load_dword v2, v[30:31], off offset:20 sc0 sc1
	s_waitcnt vmcnt(0)
	buffer_inv sc0 sc1
	v_and_b32_e32 v2, 1, v2
	s_branch .LBB3_1412
.LBB3_1417:                             ;   in Loop: Header=BB3_1340 Depth=1
	global_load_dwordx4 v[0:3], v[0:1], off
	s_and_saveexec_b64 s[16:17], s[0:1]
	s_cbranch_execz .LBB3_1339
; %bb.1418:                             ;   in Loop: Header=BB3_1340 Depth=1
	global_load_dwordx2 v[2:3], v29, s[26:27] offset:40
	global_load_dwordx2 v[6:7], v29, s[26:27] offset:24 sc0 sc1
	global_load_dwordx2 v[14:15], v29, s[26:27]
	s_waitcnt vmcnt(2)
	v_lshl_add_u64 v[10:11], v[2:3], 0, 1
	v_lshl_add_u64 v[16:17], v[10:11], 0, s[10:11]
	v_cmp_eq_u64_e32 vcc, 0, v[16:17]
	s_waitcnt vmcnt(1)
	v_mov_b32_e32 v12, v6
	v_cndmask_b32_e32 v11, v17, v11, vcc
	v_cndmask_b32_e32 v10, v16, v10, vcc
	v_and_b32_e32 v3, v11, v3
	v_and_b32_e32 v2, v10, v2
	v_mul_lo_u32 v3, v3, 24
	v_mul_hi_u32 v13, v2, 24
	v_mul_lo_u32 v2, v2, 24
	v_add_u32_e32 v3, v13, v3
	s_waitcnt vmcnt(0)
	v_lshl_add_u64 v[2:3], v[14:15], 0, v[2:3]
	global_store_dwordx2 v[2:3], v[6:7], off
	v_mov_b32_e32 v13, v7
	buffer_wbl2 sc0 sc1
	s_waitcnt vmcnt(0)
	global_atomic_cmpswap_x2 v[12:13], v29, v[10:13], s[26:27] offset:24 sc0 sc1
	s_waitcnt vmcnt(0)
	v_cmp_ne_u64_e32 vcc, v[12:13], v[6:7]
	s_and_b64 exec, exec, vcc
	s_cbranch_execz .LBB3_1339
; %bb.1419:                             ;   in Loop: Header=BB3_1340 Depth=1
	s_mov_b64 s[0:1], 0
.LBB3_1420:                             ;   Parent Loop BB3_1340 Depth=1
                                        ; =>  This Inner Loop Header: Depth=2
	s_sleep 1
	global_store_dwordx2 v[2:3], v[12:13], off
	buffer_wbl2 sc0 sc1
	s_waitcnt vmcnt(0)
	global_atomic_cmpswap_x2 v[6:7], v29, v[10:13], s[26:27] offset:24 sc0 sc1
	s_waitcnt vmcnt(0)
	v_cmp_eq_u64_e32 vcc, v[6:7], v[12:13]
	s_or_b64 s[0:1], vcc, s[0:1]
	v_mov_b64_e32 v[12:13], v[6:7]
	s_andn2_b64 exec, exec, s[0:1]
	s_cbranch_execnz .LBB3_1420
	s_branch .LBB3_1339
.LBB3_1421:
	s_branch .LBB3_1449
.LBB3_1422:
                                        ; implicit-def: $vgpr0_vgpr1
	s_cbranch_execz .LBB3_1449
; %bb.1423:
	v_readfirstlane_b32 s0, v37
	v_mov_b64_e32 v[6:7], 0
	s_nop 0
	v_cmp_eq_u32_e64 s[0:1], s0, v37
	s_and_saveexec_b64 s[2:3], s[0:1]
	s_cbranch_execz .LBB3_1429
; %bb.1424:
	s_waitcnt vmcnt(0)
	v_mov_b32_e32 v0, 0
	global_load_dwordx2 v[8:9], v0, s[26:27] offset:24 sc0 sc1
	s_waitcnt vmcnt(0)
	buffer_inv sc0 sc1
	global_load_dwordx2 v[2:3], v0, s[26:27] offset:40
	global_load_dwordx2 v[6:7], v0, s[26:27]
	s_waitcnt vmcnt(1)
	v_and_b32_e32 v1, v2, v8
	v_and_b32_e32 v2, v3, v9
	v_mul_lo_u32 v2, v2, 24
	v_mul_hi_u32 v3, v1, 24
	v_add_u32_e32 v3, v3, v2
	v_mul_lo_u32 v2, v1, 24
	s_waitcnt vmcnt(0)
	v_lshl_add_u64 v[2:3], v[6:7], 0, v[2:3]
	global_load_dwordx2 v[6:7], v[2:3], off sc0 sc1
	s_waitcnt vmcnt(0)
	global_atomic_cmpswap_x2 v[6:7], v0, v[6:9], s[26:27] offset:24 sc0 sc1
	s_waitcnt vmcnt(0)
	buffer_inv sc0 sc1
	v_cmp_ne_u64_e32 vcc, v[6:7], v[8:9]
	s_and_saveexec_b64 s[4:5], vcc
	s_cbranch_execz .LBB3_1428
; %bb.1425:
	s_mov_b64 s[6:7], 0
.LBB3_1426:                             ; =>This Inner Loop Header: Depth=1
	s_sleep 1
	global_load_dwordx2 v[2:3], v0, s[26:27] offset:40
	global_load_dwordx2 v[10:11], v0, s[26:27]
	v_mov_b64_e32 v[8:9], v[6:7]
	s_waitcnt vmcnt(1)
	v_and_b32_e32 v2, v2, v8
	v_and_b32_e32 v1, v3, v9
	s_waitcnt vmcnt(0)
	v_mad_u64_u32 v[2:3], s[10:11], v2, 24, v[10:11]
	v_mov_b32_e32 v6, v3
	v_mad_u64_u32 v[6:7], s[10:11], v1, 24, v[6:7]
	v_mov_b32_e32 v3, v6
	global_load_dwordx2 v[6:7], v[2:3], off sc0 sc1
	s_waitcnt vmcnt(0)
	global_atomic_cmpswap_x2 v[6:7], v0, v[6:9], s[26:27] offset:24 sc0 sc1
	s_waitcnt vmcnt(0)
	buffer_inv sc0 sc1
	v_cmp_eq_u64_e32 vcc, v[6:7], v[8:9]
	s_or_b64 s[6:7], vcc, s[6:7]
	s_andn2_b64 exec, exec, s[6:7]
	s_cbranch_execnz .LBB3_1426
; %bb.1427:
	s_or_b64 exec, exec, s[6:7]
.LBB3_1428:
	s_or_b64 exec, exec, s[4:5]
.LBB3_1429:
	s_or_b64 exec, exec, s[2:3]
	v_mov_b32_e32 v49, 0
	global_load_dwordx2 v[8:9], v49, s[26:27] offset:40
	global_load_dwordx4 v[0:3], v49, s[26:27]
	v_readfirstlane_b32 s2, v6
	v_readfirstlane_b32 s3, v7
	s_mov_b64 s[4:5], exec
	s_waitcnt vmcnt(1)
	v_readfirstlane_b32 s6, v8
	v_readfirstlane_b32 s7, v9
	s_and_b64 s[6:7], s[2:3], s[6:7]
	s_mul_i32 s10, s7, 24
	s_mul_hi_u32 s11, s6, 24
	s_add_i32 s11, s11, s10
	s_mul_i32 s10, s6, 24
	s_waitcnt vmcnt(0)
	v_lshl_add_u64 v[8:9], v[0:1], 0, s[10:11]
	s_and_saveexec_b64 s[10:11], s[0:1]
	s_cbranch_execz .LBB3_1431
; %bb.1430:
	v_mov_b64_e32 v[10:11], s[4:5]
	v_mov_b32_e32 v12, 2
	v_mov_b32_e32 v13, 1
	global_store_dwordx4 v[8:9], v[10:13], off offset:8
.LBB3_1431:
	s_or_b64 exec, exec, s[10:11]
	s_lshl_b64 s[4:5], s[6:7], 12
	v_lshl_add_u64 v[10:11], v[2:3], 0, s[4:5]
	s_movk_i32 s4, 0xff1f
	v_and_or_b32 v4, v4, s4, 32
	s_mov_b32 s4, 0
	v_mov_b32_e32 v6, v49
	v_mov_b32_e32 v7, v49
	v_readfirstlane_b32 s10, v10
	v_readfirstlane_b32 s11, v11
	s_mov_b32 s5, s4
	s_mov_b32 s6, s4
	;; [unrolled: 1-line block ×3, first 2 shown]
	s_nop 1
	global_store_dwordx4 v48, v[4:7], s[10:11]
	v_mov_b64_e32 v[2:3], s[4:5]
	s_nop 0
	v_mov_b64_e32 v[4:5], s[6:7]
	global_store_dwordx4 v48, v[2:5], s[10:11] offset:16
	global_store_dwordx4 v48, v[2:5], s[10:11] offset:32
	;; [unrolled: 1-line block ×3, first 2 shown]
	s_and_saveexec_b64 s[4:5], s[0:1]
	s_cbranch_execz .LBB3_1439
; %bb.1432:
	v_mov_b32_e32 v6, 0
	global_load_dwordx2 v[14:15], v6, s[26:27] offset:32 sc0 sc1
	global_load_dwordx2 v[2:3], v6, s[26:27] offset:40
	v_mov_b32_e32 v12, s2
	v_mov_b32_e32 v13, s3
	s_waitcnt vmcnt(0)
	v_readfirstlane_b32 s6, v2
	v_readfirstlane_b32 s7, v3
	s_and_b64 s[6:7], s[6:7], s[2:3]
	s_mul_i32 s7, s7, 24
	s_mul_hi_u32 s10, s6, 24
	s_mul_i32 s6, s6, 24
	s_add_i32 s7, s10, s7
	v_lshl_add_u64 v[4:5], v[0:1], 0, s[6:7]
	global_store_dwordx2 v[4:5], v[14:15], off
	buffer_wbl2 sc0 sc1
	s_waitcnt vmcnt(0)
	global_atomic_cmpswap_x2 v[2:3], v6, v[12:15], s[26:27] offset:32 sc0 sc1
	s_waitcnt vmcnt(0)
	v_cmp_ne_u64_e32 vcc, v[2:3], v[14:15]
	s_and_saveexec_b64 s[6:7], vcc
	s_cbranch_execz .LBB3_1435
; %bb.1433:
	s_mov_b64 s[10:11], 0
.LBB3_1434:                             ; =>This Inner Loop Header: Depth=1
	s_sleep 1
	global_store_dwordx2 v[4:5], v[2:3], off
	v_mov_b32_e32 v0, s2
	v_mov_b32_e32 v1, s3
	buffer_wbl2 sc0 sc1
	s_waitcnt vmcnt(0)
	global_atomic_cmpswap_x2 v[0:1], v6, v[0:3], s[26:27] offset:32 sc0 sc1
	s_waitcnt vmcnt(0)
	v_cmp_eq_u64_e32 vcc, v[0:1], v[2:3]
	s_or_b64 s[10:11], vcc, s[10:11]
	v_mov_b64_e32 v[2:3], v[0:1]
	s_andn2_b64 exec, exec, s[10:11]
	s_cbranch_execnz .LBB3_1434
.LBB3_1435:
	s_or_b64 exec, exec, s[6:7]
	v_mov_b32_e32 v3, 0
	global_load_dwordx2 v[0:1], v3, s[26:27] offset:16
	s_mov_b64 s[6:7], exec
	v_mbcnt_lo_u32_b32 v2, s6, 0
	v_mbcnt_hi_u32_b32 v2, s7, v2
	v_cmp_eq_u32_e32 vcc, 0, v2
	s_and_saveexec_b64 s[10:11], vcc
	s_cbranch_execz .LBB3_1437
; %bb.1436:
	s_bcnt1_i32_b64 s6, s[6:7]
	v_mov_b32_e32 v2, s6
	buffer_wbl2 sc0 sc1
	s_waitcnt vmcnt(0)
	global_atomic_add_x2 v[0:1], v[2:3], off offset:8 sc1
.LBB3_1437:
	s_or_b64 exec, exec, s[10:11]
	s_waitcnt vmcnt(0)
	global_load_dwordx2 v[2:3], v[0:1], off offset:16
	s_waitcnt vmcnt(0)
	v_cmp_eq_u64_e32 vcc, 0, v[2:3]
	s_cbranch_vccnz .LBB3_1439
; %bb.1438:
	global_load_dword v0, v[0:1], off offset:24
	v_mov_b32_e32 v1, 0
	buffer_wbl2 sc0 sc1
	s_waitcnt vmcnt(0)
	global_store_dwordx2 v[2:3], v[0:1], off sc0 sc1
	v_and_b32_e32 v0, 0xffffff, v0
	s_nop 0
	v_readfirstlane_b32 m0, v0
	s_sendmsg sendmsg(MSG_INTERRUPT)
.LBB3_1439:
	s_or_b64 exec, exec, s[4:5]
	v_lshl_add_u64 v[0:1], v[10:11], 0, v[48:49]
	s_branch .LBB3_1443
.LBB3_1440:                             ;   in Loop: Header=BB3_1443 Depth=1
	s_or_b64 exec, exec, s[4:5]
	v_readfirstlane_b32 s4, v2
	s_cmp_eq_u32 s4, 0
	s_cbranch_scc1 .LBB3_1442
; %bb.1441:                             ;   in Loop: Header=BB3_1443 Depth=1
	s_sleep 1
	s_cbranch_execnz .LBB3_1443
	s_branch .LBB3_1445
.LBB3_1442:
	s_branch .LBB3_1445
.LBB3_1443:                             ; =>This Inner Loop Header: Depth=1
	v_mov_b32_e32 v2, 1
	s_and_saveexec_b64 s[4:5], s[0:1]
	s_cbranch_execz .LBB3_1440
; %bb.1444:                             ;   in Loop: Header=BB3_1443 Depth=1
	global_load_dword v2, v[8:9], off offset:20 sc0 sc1
	s_waitcnt vmcnt(0)
	buffer_inv sc0 sc1
	v_and_b32_e32 v2, 1, v2
	s_branch .LBB3_1440
.LBB3_1445:
	global_load_dwordx2 v[0:1], v[0:1], off
	s_and_saveexec_b64 s[4:5], s[0:1]
	s_cbranch_execz .LBB3_1448
; %bb.1446:
	v_mov_b32_e32 v8, 0
	global_load_dwordx2 v[6:7], v8, s[26:27] offset:40
	global_load_dwordx2 v[10:11], v8, s[26:27] offset:24 sc0 sc1
	global_load_dwordx2 v[12:13], v8, s[26:27]
	s_mov_b64 s[0:1], 0
	s_waitcnt vmcnt(2)
	v_lshl_add_u64 v[2:3], v[6:7], 0, 1
	v_lshl_add_u64 v[14:15], v[2:3], 0, s[2:3]
	v_cmp_eq_u64_e32 vcc, 0, v[14:15]
	s_waitcnt vmcnt(1)
	v_mov_b32_e32 v4, v10
	v_cndmask_b32_e32 v3, v15, v3, vcc
	v_cndmask_b32_e32 v2, v14, v2, vcc
	v_and_b32_e32 v5, v3, v7
	v_and_b32_e32 v6, v2, v6
	v_mul_lo_u32 v5, v5, 24
	v_mul_hi_u32 v7, v6, 24
	v_mul_lo_u32 v6, v6, 24
	v_add_u32_e32 v7, v7, v5
	s_waitcnt vmcnt(0)
	v_lshl_add_u64 v[6:7], v[12:13], 0, v[6:7]
	global_store_dwordx2 v[6:7], v[10:11], off
	v_mov_b32_e32 v5, v11
	buffer_wbl2 sc0 sc1
	s_waitcnt vmcnt(0)
	global_atomic_cmpswap_x2 v[4:5], v8, v[2:5], s[26:27] offset:24 sc0 sc1
	s_waitcnt vmcnt(0)
	v_cmp_ne_u64_e32 vcc, v[4:5], v[10:11]
	s_and_b64 exec, exec, vcc
	s_cbranch_execz .LBB3_1448
.LBB3_1447:                             ; =>This Inner Loop Header: Depth=1
	s_sleep 1
	global_store_dwordx2 v[6:7], v[4:5], off
	buffer_wbl2 sc0 sc1
	s_waitcnt vmcnt(0)
	global_atomic_cmpswap_x2 v[10:11], v8, v[2:5], s[26:27] offset:24 sc0 sc1
	s_waitcnt vmcnt(0)
	v_cmp_eq_u64_e32 vcc, v[10:11], v[4:5]
	s_or_b64 s[0:1], vcc, s[0:1]
	v_mov_b64_e32 v[4:5], v[10:11]
	s_andn2_b64 exec, exec, s[0:1]
	s_cbranch_execnz .LBB3_1447
.LBB3_1448:
	s_or_b64 exec, exec, s[4:5]
.LBB3_1449:
	s_getpc_b64 s[2:3]
	s_add_u32 s2, s2, .str.2@rel32@lo+4
	s_addc_u32 s3, s3, .str.2@rel32@hi+12
	s_cmp_lg_u64 s[2:3], 0
	s_cbranch_scc0 .LBB3_1534
; %bb.1450:
	s_waitcnt vmcnt(0)
	v_and_b32_e32 v6, -3, v0
	v_mov_b32_e32 v7, v1
	s_mov_b64 s[4:5], 13
	v_mov_b32_e32 v27, 0
	v_mov_b32_e32 v4, 2
	;; [unrolled: 1-line block ×3, first 2 shown]
	s_branch .LBB3_1452
.LBB3_1451:                             ;   in Loop: Header=BB3_1452 Depth=1
	s_or_b64 exec, exec, s[16:17]
	s_sub_u32 s4, s4, s6
	s_subb_u32 s5, s5, s7
	s_add_u32 s2, s2, s6
	s_addc_u32 s3, s3, s7
	s_cmp_lg_u64 s[4:5], 0
	s_cbranch_scc0 .LBB3_1533
.LBB3_1452:                             ; =>This Loop Header: Depth=1
                                        ;     Child Loop BB3_1455 Depth 2
                                        ;     Child Loop BB3_1462 Depth 2
	;; [unrolled: 1-line block ×11, first 2 shown]
	v_cmp_lt_u64_e64 s[0:1], s[4:5], 56
	s_and_b64 s[0:1], s[0:1], exec
	v_cmp_gt_u64_e64 s[0:1], s[4:5], 7
	s_cselect_b32 s7, s5, 0
	s_cselect_b32 s6, s4, 56
	s_and_b64 vcc, exec, s[0:1]
	s_cbranch_vccnz .LBB3_1457
; %bb.1453:                             ;   in Loop: Header=BB3_1452 Depth=1
	s_mov_b64 s[0:1], 0
	s_cmp_eq_u64 s[4:5], 0
	s_waitcnt vmcnt(0)
	v_mov_b64_e32 v[8:9], 0
	s_cbranch_scc1 .LBB3_1456
; %bb.1454:                             ;   in Loop: Header=BB3_1452 Depth=1
	s_lshl_b64 s[10:11], s[6:7], 3
	s_mov_b64 s[16:17], 0
	v_mov_b64_e32 v[8:9], 0
	s_mov_b64 s[20:21], s[2:3]
.LBB3_1455:                             ;   Parent Loop BB3_1452 Depth=1
                                        ; =>  This Inner Loop Header: Depth=2
	global_load_ubyte v2, v27, s[20:21]
	s_waitcnt vmcnt(0)
	v_and_b32_e32 v26, 0xffff, v2
	v_lshlrev_b64 v[2:3], s16, v[26:27]
	s_add_u32 s16, s16, 8
	s_addc_u32 s17, s17, 0
	s_add_u32 s20, s20, 1
	s_addc_u32 s21, s21, 0
	v_or_b32_e32 v8, v2, v8
	s_cmp_lg_u32 s10, s16
	v_or_b32_e32 v9, v3, v9
	s_cbranch_scc1 .LBB3_1455
.LBB3_1456:                             ;   in Loop: Header=BB3_1452 Depth=1
	s_mov_b32 s15, 0
	s_andn2_b64 vcc, exec, s[0:1]
	s_mov_b64 s[0:1], s[2:3]
	s_cbranch_vccz .LBB3_1458
	s_branch .LBB3_1459
.LBB3_1457:                             ;   in Loop: Header=BB3_1452 Depth=1
                                        ; implicit-def: $sgpr15
	s_mov_b64 s[0:1], s[2:3]
.LBB3_1458:                             ;   in Loop: Header=BB3_1452 Depth=1
	global_load_dwordx2 v[8:9], v27, s[2:3]
	s_add_i32 s15, s6, -8
	s_add_u32 s0, s2, 8
	s_addc_u32 s1, s3, 0
.LBB3_1459:                             ;   in Loop: Header=BB3_1452 Depth=1
	s_cmp_gt_u32 s15, 7
	s_cbranch_scc1 .LBB3_1463
; %bb.1460:                             ;   in Loop: Header=BB3_1452 Depth=1
	s_cmp_eq_u32 s15, 0
	s_cbranch_scc1 .LBB3_1464
; %bb.1461:                             ;   in Loop: Header=BB3_1452 Depth=1
	s_mov_b64 s[10:11], 0
	v_mov_b64_e32 v[10:11], 0
	s_mov_b64 s[16:17], 0
.LBB3_1462:                             ;   Parent Loop BB3_1452 Depth=1
                                        ; =>  This Inner Loop Header: Depth=2
	s_add_u32 s20, s0, s16
	s_addc_u32 s21, s1, s17
	global_load_ubyte v2, v27, s[20:21]
	s_add_u32 s16, s16, 1
	s_addc_u32 s17, s17, 0
	s_waitcnt vmcnt(0)
	v_and_b32_e32 v26, 0xffff, v2
	v_lshlrev_b64 v[2:3], s10, v[26:27]
	s_add_u32 s10, s10, 8
	s_addc_u32 s11, s11, 0
	v_or_b32_e32 v10, v2, v10
	s_cmp_lg_u32 s15, s16
	v_or_b32_e32 v11, v3, v11
	s_cbranch_scc1 .LBB3_1462
	s_branch .LBB3_1465
.LBB3_1463:                             ;   in Loop: Header=BB3_1452 Depth=1
                                        ; implicit-def: $vgpr10_vgpr11
                                        ; implicit-def: $sgpr20
	s_branch .LBB3_1466
.LBB3_1464:                             ;   in Loop: Header=BB3_1452 Depth=1
	v_mov_b64_e32 v[10:11], 0
.LBB3_1465:                             ;   in Loop: Header=BB3_1452 Depth=1
	s_mov_b32 s20, 0
	s_cbranch_execnz .LBB3_1467
.LBB3_1466:                             ;   in Loop: Header=BB3_1452 Depth=1
	global_load_dwordx2 v[10:11], v27, s[0:1]
	s_add_i32 s20, s15, -8
	s_add_u32 s0, s0, 8
	s_addc_u32 s1, s1, 0
.LBB3_1467:                             ;   in Loop: Header=BB3_1452 Depth=1
	s_cmp_gt_u32 s20, 7
	s_cbranch_scc1 .LBB3_1471
; %bb.1468:                             ;   in Loop: Header=BB3_1452 Depth=1
	s_cmp_eq_u32 s20, 0
	s_cbranch_scc1 .LBB3_1472
; %bb.1469:                             ;   in Loop: Header=BB3_1452 Depth=1
	s_mov_b64 s[10:11], 0
	v_mov_b64_e32 v[12:13], 0
	s_mov_b64 s[16:17], 0
.LBB3_1470:                             ;   Parent Loop BB3_1452 Depth=1
                                        ; =>  This Inner Loop Header: Depth=2
	s_add_u32 vcc_lo, s0, s16
	s_addc_u32 vcc_hi, s1, s17
	global_load_ubyte v2, v27, vcc
	s_add_u32 s16, s16, 1
	s_addc_u32 s17, s17, 0
	s_waitcnt vmcnt(0)
	v_and_b32_e32 v26, 0xffff, v2
	v_lshlrev_b64 v[2:3], s10, v[26:27]
	s_add_u32 s10, s10, 8
	s_addc_u32 s11, s11, 0
	v_or_b32_e32 v12, v2, v12
	s_cmp_lg_u32 s20, s16
	v_or_b32_e32 v13, v3, v13
	s_cbranch_scc1 .LBB3_1470
	s_branch .LBB3_1473
.LBB3_1471:                             ;   in Loop: Header=BB3_1452 Depth=1
                                        ; implicit-def: $sgpr15
	s_branch .LBB3_1474
.LBB3_1472:                             ;   in Loop: Header=BB3_1452 Depth=1
	v_mov_b64_e32 v[12:13], 0
.LBB3_1473:                             ;   in Loop: Header=BB3_1452 Depth=1
	s_mov_b32 s15, 0
	s_cbranch_execnz .LBB3_1475
.LBB3_1474:                             ;   in Loop: Header=BB3_1452 Depth=1
	global_load_dwordx2 v[12:13], v27, s[0:1]
	s_add_i32 s15, s20, -8
	s_add_u32 s0, s0, 8
	s_addc_u32 s1, s1, 0
.LBB3_1475:                             ;   in Loop: Header=BB3_1452 Depth=1
	s_cmp_gt_u32 s15, 7
	s_cbranch_scc1 .LBB3_1479
; %bb.1476:                             ;   in Loop: Header=BB3_1452 Depth=1
	s_cmp_eq_u32 s15, 0
	s_cbranch_scc1 .LBB3_1480
; %bb.1477:                             ;   in Loop: Header=BB3_1452 Depth=1
	s_mov_b64 s[10:11], 0
	v_mov_b64_e32 v[14:15], 0
	s_mov_b64 s[16:17], 0
.LBB3_1478:                             ;   Parent Loop BB3_1452 Depth=1
                                        ; =>  This Inner Loop Header: Depth=2
	s_add_u32 s20, s0, s16
	s_addc_u32 s21, s1, s17
	global_load_ubyte v2, v27, s[20:21]
	s_add_u32 s16, s16, 1
	s_addc_u32 s17, s17, 0
	s_waitcnt vmcnt(0)
	v_and_b32_e32 v26, 0xffff, v2
	v_lshlrev_b64 v[2:3], s10, v[26:27]
	s_add_u32 s10, s10, 8
	s_addc_u32 s11, s11, 0
	v_or_b32_e32 v14, v2, v14
	s_cmp_lg_u32 s15, s16
	v_or_b32_e32 v15, v3, v15
	s_cbranch_scc1 .LBB3_1478
	s_branch .LBB3_1481
.LBB3_1479:                             ;   in Loop: Header=BB3_1452 Depth=1
                                        ; implicit-def: $vgpr14_vgpr15
                                        ; implicit-def: $sgpr20
	s_branch .LBB3_1482
.LBB3_1480:                             ;   in Loop: Header=BB3_1452 Depth=1
	v_mov_b64_e32 v[14:15], 0
.LBB3_1481:                             ;   in Loop: Header=BB3_1452 Depth=1
	s_mov_b32 s20, 0
	s_cbranch_execnz .LBB3_1483
.LBB3_1482:                             ;   in Loop: Header=BB3_1452 Depth=1
	global_load_dwordx2 v[14:15], v27, s[0:1]
	s_add_i32 s20, s15, -8
	s_add_u32 s0, s0, 8
	s_addc_u32 s1, s1, 0
.LBB3_1483:                             ;   in Loop: Header=BB3_1452 Depth=1
	s_cmp_gt_u32 s20, 7
	s_cbranch_scc1 .LBB3_1487
; %bb.1484:                             ;   in Loop: Header=BB3_1452 Depth=1
	s_cmp_eq_u32 s20, 0
	s_cbranch_scc1 .LBB3_1488
; %bb.1485:                             ;   in Loop: Header=BB3_1452 Depth=1
	s_mov_b64 s[10:11], 0
	v_mov_b64_e32 v[16:17], 0
	s_mov_b64 s[16:17], 0
.LBB3_1486:                             ;   Parent Loop BB3_1452 Depth=1
                                        ; =>  This Inner Loop Header: Depth=2
	s_add_u32 vcc_lo, s0, s16
	s_addc_u32 vcc_hi, s1, s17
	global_load_ubyte v2, v27, vcc
	s_add_u32 s16, s16, 1
	s_addc_u32 s17, s17, 0
	s_waitcnt vmcnt(0)
	v_and_b32_e32 v26, 0xffff, v2
	v_lshlrev_b64 v[2:3], s10, v[26:27]
	s_add_u32 s10, s10, 8
	s_addc_u32 s11, s11, 0
	v_or_b32_e32 v16, v2, v16
	s_cmp_lg_u32 s20, s16
	v_or_b32_e32 v17, v3, v17
	s_cbranch_scc1 .LBB3_1486
	s_branch .LBB3_1489
.LBB3_1487:                             ;   in Loop: Header=BB3_1452 Depth=1
                                        ; implicit-def: $sgpr15
	s_branch .LBB3_1490
.LBB3_1488:                             ;   in Loop: Header=BB3_1452 Depth=1
	v_mov_b64_e32 v[16:17], 0
.LBB3_1489:                             ;   in Loop: Header=BB3_1452 Depth=1
	s_mov_b32 s15, 0
	s_cbranch_execnz .LBB3_1491
.LBB3_1490:                             ;   in Loop: Header=BB3_1452 Depth=1
	global_load_dwordx2 v[16:17], v27, s[0:1]
	s_add_i32 s15, s20, -8
	s_add_u32 s0, s0, 8
	s_addc_u32 s1, s1, 0
.LBB3_1491:                             ;   in Loop: Header=BB3_1452 Depth=1
	s_cmp_gt_u32 s15, 7
	s_cbranch_scc1 .LBB3_1495
; %bb.1492:                             ;   in Loop: Header=BB3_1452 Depth=1
	s_cmp_eq_u32 s15, 0
	s_cbranch_scc1 .LBB3_1496
; %bb.1493:                             ;   in Loop: Header=BB3_1452 Depth=1
	s_mov_b64 s[10:11], 0
	v_mov_b64_e32 v[18:19], 0
	s_mov_b64 s[16:17], 0
.LBB3_1494:                             ;   Parent Loop BB3_1452 Depth=1
                                        ; =>  This Inner Loop Header: Depth=2
	s_add_u32 s20, s0, s16
	s_addc_u32 s21, s1, s17
	global_load_ubyte v2, v27, s[20:21]
	s_add_u32 s16, s16, 1
	s_addc_u32 s17, s17, 0
	s_waitcnt vmcnt(0)
	v_and_b32_e32 v26, 0xffff, v2
	v_lshlrev_b64 v[2:3], s10, v[26:27]
	s_add_u32 s10, s10, 8
	s_addc_u32 s11, s11, 0
	v_or_b32_e32 v18, v2, v18
	s_cmp_lg_u32 s15, s16
	v_or_b32_e32 v19, v3, v19
	s_cbranch_scc1 .LBB3_1494
	s_branch .LBB3_1497
.LBB3_1495:                             ;   in Loop: Header=BB3_1452 Depth=1
                                        ; implicit-def: $vgpr18_vgpr19
                                        ; implicit-def: $sgpr20
	s_branch .LBB3_1498
.LBB3_1496:                             ;   in Loop: Header=BB3_1452 Depth=1
	v_mov_b64_e32 v[18:19], 0
.LBB3_1497:                             ;   in Loop: Header=BB3_1452 Depth=1
	s_mov_b32 s20, 0
	s_cbranch_execnz .LBB3_1499
.LBB3_1498:                             ;   in Loop: Header=BB3_1452 Depth=1
	global_load_dwordx2 v[18:19], v27, s[0:1]
	s_add_i32 s20, s15, -8
	s_add_u32 s0, s0, 8
	s_addc_u32 s1, s1, 0
.LBB3_1499:                             ;   in Loop: Header=BB3_1452 Depth=1
	s_cmp_gt_u32 s20, 7
	s_cbranch_scc1 .LBB3_1503
; %bb.1500:                             ;   in Loop: Header=BB3_1452 Depth=1
	s_cmp_eq_u32 s20, 0
	s_cbranch_scc1 .LBB3_1504
; %bb.1501:                             ;   in Loop: Header=BB3_1452 Depth=1
	s_mov_b64 s[10:11], 0
	v_mov_b64_e32 v[20:21], 0
	s_mov_b64 s[16:17], s[0:1]
.LBB3_1502:                             ;   Parent Loop BB3_1452 Depth=1
                                        ; =>  This Inner Loop Header: Depth=2
	global_load_ubyte v2, v27, s[16:17]
	s_add_i32 s20, s20, -1
	s_waitcnt vmcnt(0)
	v_and_b32_e32 v26, 0xffff, v2
	v_lshlrev_b64 v[2:3], s10, v[26:27]
	s_add_u32 s10, s10, 8
	s_addc_u32 s11, s11, 0
	s_add_u32 s16, s16, 1
	s_addc_u32 s17, s17, 0
	v_or_b32_e32 v20, v2, v20
	s_cmp_lg_u32 s20, 0
	v_or_b32_e32 v21, v3, v21
	s_cbranch_scc1 .LBB3_1502
	s_branch .LBB3_1505
.LBB3_1503:                             ;   in Loop: Header=BB3_1452 Depth=1
	s_branch .LBB3_1506
.LBB3_1504:                             ;   in Loop: Header=BB3_1452 Depth=1
	v_mov_b64_e32 v[20:21], 0
.LBB3_1505:                             ;   in Loop: Header=BB3_1452 Depth=1
	s_cbranch_execnz .LBB3_1507
.LBB3_1506:                             ;   in Loop: Header=BB3_1452 Depth=1
	global_load_dwordx2 v[20:21], v27, s[0:1]
.LBB3_1507:                             ;   in Loop: Header=BB3_1452 Depth=1
	v_readfirstlane_b32 s0, v37
	v_mov_b64_e32 v[2:3], 0
	s_nop 0
	v_cmp_eq_u32_e64 s[0:1], s0, v37
	s_and_saveexec_b64 s[10:11], s[0:1]
	s_cbranch_execz .LBB3_1513
; %bb.1508:                             ;   in Loop: Header=BB3_1452 Depth=1
	global_load_dwordx2 v[24:25], v27, s[26:27] offset:24 sc0 sc1
	s_waitcnt vmcnt(0)
	buffer_inv sc0 sc1
	global_load_dwordx2 v[2:3], v27, s[26:27] offset:40
	global_load_dwordx2 v[22:23], v27, s[26:27]
	s_waitcnt vmcnt(1)
	v_and_b32_e32 v2, v2, v24
	v_and_b32_e32 v3, v3, v25
	v_mul_lo_u32 v3, v3, 24
	v_mul_hi_u32 v26, v2, 24
	v_add_u32_e32 v3, v26, v3
	v_mul_lo_u32 v2, v2, 24
	s_waitcnt vmcnt(0)
	v_lshl_add_u64 v[2:3], v[22:23], 0, v[2:3]
	global_load_dwordx2 v[22:23], v[2:3], off sc0 sc1
	s_waitcnt vmcnt(0)
	global_atomic_cmpswap_x2 v[2:3], v27, v[22:25], s[26:27] offset:24 sc0 sc1
	s_waitcnt vmcnt(0)
	buffer_inv sc0 sc1
	v_cmp_ne_u64_e32 vcc, v[2:3], v[24:25]
	s_and_saveexec_b64 s[16:17], vcc
	s_cbranch_execz .LBB3_1512
; %bb.1509:                             ;   in Loop: Header=BB3_1452 Depth=1
	s_mov_b64 s[20:21], 0
.LBB3_1510:                             ;   Parent Loop BB3_1452 Depth=1
                                        ; =>  This Inner Loop Header: Depth=2
	s_sleep 1
	global_load_dwordx2 v[22:23], v27, s[26:27] offset:40
	global_load_dwordx2 v[28:29], v27, s[26:27]
	v_mov_b64_e32 v[24:25], v[2:3]
	s_waitcnt vmcnt(1)
	v_and_b32_e32 v2, v22, v24
	s_waitcnt vmcnt(0)
	v_mad_u64_u32 v[2:3], vcc, v2, 24, v[28:29]
	v_and_b32_e32 v23, v23, v25
	v_mov_b32_e32 v22, v3
	v_mad_u64_u32 v[22:23], vcc, v23, 24, v[22:23]
	v_mov_b32_e32 v3, v22
	global_load_dwordx2 v[22:23], v[2:3], off sc0 sc1
	s_waitcnt vmcnt(0)
	global_atomic_cmpswap_x2 v[2:3], v27, v[22:25], s[26:27] offset:24 sc0 sc1
	s_waitcnt vmcnt(0)
	buffer_inv sc0 sc1
	v_cmp_eq_u64_e32 vcc, v[2:3], v[24:25]
	s_or_b64 s[20:21], vcc, s[20:21]
	s_andn2_b64 exec, exec, s[20:21]
	s_cbranch_execnz .LBB3_1510
; %bb.1511:                             ;   in Loop: Header=BB3_1452 Depth=1
	s_or_b64 exec, exec, s[20:21]
.LBB3_1512:                             ;   in Loop: Header=BB3_1452 Depth=1
	s_or_b64 exec, exec, s[16:17]
.LBB3_1513:                             ;   in Loop: Header=BB3_1452 Depth=1
	s_or_b64 exec, exec, s[10:11]
	global_load_dwordx2 v[28:29], v27, s[26:27] offset:40
	global_load_dwordx4 v[22:25], v27, s[26:27]
	v_readfirstlane_b32 s10, v2
	v_readfirstlane_b32 s11, v3
	s_mov_b64 s[16:17], exec
	s_waitcnt vmcnt(1)
	v_readfirstlane_b32 s20, v28
	v_readfirstlane_b32 s21, v29
	s_and_b64 s[20:21], s[10:11], s[20:21]
	s_mul_i32 s15, s21, 24
	s_mul_hi_u32 vcc_lo, s20, 24
	s_add_i32 vcc_hi, vcc_lo, s15
	s_mul_i32 vcc_lo, s20, 24
	s_waitcnt vmcnt(0)
	v_lshl_add_u64 v[28:29], v[22:23], 0, vcc
	s_and_saveexec_b64 vcc, s[0:1]
	s_cbranch_execz .LBB3_1515
; %bb.1514:                             ;   in Loop: Header=BB3_1452 Depth=1
	v_mov_b64_e32 v[2:3], s[16:17]
	global_store_dwordx4 v[28:29], v[2:5], off offset:8
.LBB3_1515:                             ;   in Loop: Header=BB3_1452 Depth=1
	s_or_b64 exec, exec, vcc
	s_lshl_b64 s[16:17], s[20:21], 12
	v_lshl_add_u64 v[2:3], v[24:25], 0, s[16:17]
	v_or_b32_e32 v24, 2, v6
	v_cmp_gt_u64_e64 vcc, s[4:5], 56
	s_lshl_b32 s15, s6, 2
	s_add_i32 s15, s15, 28
	v_cndmask_b32_e32 v6, v24, v6, vcc
	s_and_b32 s15, s15, 0x1e0
	v_and_b32_e32 v6, 0xffffff1f, v6
	v_or_b32_e32 v6, s15, v6
	v_readfirstlane_b32 s16, v2
	v_readfirstlane_b32 s17, v3
	s_nop 4
	global_store_dwordx4 v48, v[6:9], s[16:17]
	global_store_dwordx4 v48, v[10:13], s[16:17] offset:16
	global_store_dwordx4 v48, v[14:17], s[16:17] offset:32
	global_store_dwordx4 v48, v[18:21], s[16:17] offset:48
	s_and_saveexec_b64 s[16:17], s[0:1]
	s_cbranch_execz .LBB3_1523
; %bb.1516:                             ;   in Loop: Header=BB3_1452 Depth=1
	global_load_dwordx2 v[14:15], v27, s[26:27] offset:32 sc0 sc1
	global_load_dwordx2 v[6:7], v27, s[26:27] offset:40
	v_mov_b32_e32 v12, s10
	v_mov_b32_e32 v13, s11
	s_waitcnt vmcnt(0)
	v_readfirstlane_b32 s20, v6
	v_readfirstlane_b32 s21, v7
	s_and_b64 s[20:21], s[20:21], s[10:11]
	s_mul_i32 s15, s21, 24
	s_mul_hi_u32 s21, s20, 24
	s_mul_i32 s20, s20, 24
	s_add_i32 s21, s21, s15
	v_lshl_add_u64 v[10:11], v[22:23], 0, s[20:21]
	global_store_dwordx2 v[10:11], v[14:15], off
	buffer_wbl2 sc0 sc1
	s_waitcnt vmcnt(0)
	global_atomic_cmpswap_x2 v[8:9], v27, v[12:15], s[26:27] offset:32 sc0 sc1
	s_waitcnt vmcnt(0)
	v_cmp_ne_u64_e32 vcc, v[8:9], v[14:15]
	s_and_saveexec_b64 s[20:21], vcc
	s_cbranch_execz .LBB3_1519
; %bb.1517:                             ;   in Loop: Header=BB3_1452 Depth=1
	s_mov_b64 s[30:31], 0
.LBB3_1518:                             ;   Parent Loop BB3_1452 Depth=1
                                        ; =>  This Inner Loop Header: Depth=2
	s_sleep 1
	global_store_dwordx2 v[10:11], v[8:9], off
	v_mov_b32_e32 v6, s10
	v_mov_b32_e32 v7, s11
	buffer_wbl2 sc0 sc1
	s_waitcnt vmcnt(0)
	global_atomic_cmpswap_x2 v[6:7], v27, v[6:9], s[26:27] offset:32 sc0 sc1
	s_waitcnt vmcnt(0)
	v_cmp_eq_u64_e32 vcc, v[6:7], v[8:9]
	s_or_b64 s[30:31], vcc, s[30:31]
	v_mov_b64_e32 v[8:9], v[6:7]
	s_andn2_b64 exec, exec, s[30:31]
	s_cbranch_execnz .LBB3_1518
.LBB3_1519:                             ;   in Loop: Header=BB3_1452 Depth=1
	s_or_b64 exec, exec, s[20:21]
	global_load_dwordx2 v[6:7], v27, s[26:27] offset:16
	s_mov_b64 s[30:31], exec
	v_mbcnt_lo_u32_b32 v8, s30, 0
	v_mbcnt_hi_u32_b32 v8, s31, v8
	v_cmp_eq_u32_e32 vcc, 0, v8
	s_and_saveexec_b64 s[20:21], vcc
	s_cbranch_execz .LBB3_1521
; %bb.1520:                             ;   in Loop: Header=BB3_1452 Depth=1
	s_bcnt1_i32_b64 s15, s[30:31]
	v_mov_b32_e32 v26, s15
	buffer_wbl2 sc0 sc1
	s_waitcnt vmcnt(0)
	global_atomic_add_x2 v[6:7], v[26:27], off offset:8 sc1
.LBB3_1521:                             ;   in Loop: Header=BB3_1452 Depth=1
	s_or_b64 exec, exec, s[20:21]
	s_waitcnt vmcnt(0)
	global_load_dwordx2 v[8:9], v[6:7], off offset:16
	s_waitcnt vmcnt(0)
	v_cmp_eq_u64_e32 vcc, 0, v[8:9]
	s_cbranch_vccnz .LBB3_1523
; %bb.1522:                             ;   in Loop: Header=BB3_1452 Depth=1
	global_load_dword v26, v[6:7], off offset:24
	s_waitcnt vmcnt(0)
	v_and_b32_e32 v6, 0xffffff, v26
	s_nop 0
	v_readfirstlane_b32 m0, v6
	buffer_wbl2 sc0 sc1
	global_store_dwordx2 v[8:9], v[26:27], off sc0 sc1
	s_sendmsg sendmsg(MSG_INTERRUPT)
.LBB3_1523:                             ;   in Loop: Header=BB3_1452 Depth=1
	s_or_b64 exec, exec, s[16:17]
	v_mov_b32_e32 v49, v27
	v_lshl_add_u64 v[2:3], v[2:3], 0, v[48:49]
	s_branch .LBB3_1527
.LBB3_1524:                             ;   in Loop: Header=BB3_1527 Depth=2
	s_or_b64 exec, exec, s[16:17]
	v_readfirstlane_b32 s15, v6
	s_cmp_eq_u32 s15, 0
	s_cbranch_scc1 .LBB3_1526
; %bb.1525:                             ;   in Loop: Header=BB3_1527 Depth=2
	s_sleep 1
	s_cbranch_execnz .LBB3_1527
	s_branch .LBB3_1529
.LBB3_1526:                             ;   in Loop: Header=BB3_1452 Depth=1
	s_branch .LBB3_1529
.LBB3_1527:                             ;   Parent Loop BB3_1452 Depth=1
                                        ; =>  This Inner Loop Header: Depth=2
	v_mov_b32_e32 v6, 1
	s_and_saveexec_b64 s[16:17], s[0:1]
	s_cbranch_execz .LBB3_1524
; %bb.1528:                             ;   in Loop: Header=BB3_1527 Depth=2
	global_load_dword v6, v[28:29], off offset:20 sc0 sc1
	s_waitcnt vmcnt(0)
	buffer_inv sc0 sc1
	v_and_b32_e32 v6, 1, v6
	s_branch .LBB3_1524
.LBB3_1529:                             ;   in Loop: Header=BB3_1452 Depth=1
	global_load_dwordx4 v[6:9], v[2:3], off
	s_and_saveexec_b64 s[16:17], s[0:1]
	s_cbranch_execz .LBB3_1451
; %bb.1530:                             ;   in Loop: Header=BB3_1452 Depth=1
	global_load_dwordx2 v[2:3], v27, s[26:27] offset:40
	global_load_dwordx2 v[12:13], v27, s[26:27] offset:24 sc0 sc1
	global_load_dwordx2 v[14:15], v27, s[26:27]
	s_waitcnt vmcnt(2)
	v_lshl_add_u64 v[8:9], v[2:3], 0, 1
	v_lshl_add_u64 v[16:17], v[8:9], 0, s[10:11]
	v_cmp_eq_u64_e32 vcc, 0, v[16:17]
	s_waitcnt vmcnt(1)
	v_mov_b32_e32 v10, v12
	v_cndmask_b32_e32 v9, v17, v9, vcc
	v_cndmask_b32_e32 v8, v16, v8, vcc
	v_and_b32_e32 v3, v9, v3
	v_and_b32_e32 v2, v8, v2
	v_mul_lo_u32 v3, v3, 24
	v_mul_hi_u32 v11, v2, 24
	v_mul_lo_u32 v2, v2, 24
	v_add_u32_e32 v3, v11, v3
	s_waitcnt vmcnt(0)
	v_lshl_add_u64 v[2:3], v[14:15], 0, v[2:3]
	global_store_dwordx2 v[2:3], v[12:13], off
	v_mov_b32_e32 v11, v13
	buffer_wbl2 sc0 sc1
	s_waitcnt vmcnt(0)
	global_atomic_cmpswap_x2 v[10:11], v27, v[8:11], s[26:27] offset:24 sc0 sc1
	s_waitcnt vmcnt(0)
	v_cmp_ne_u64_e32 vcc, v[10:11], v[12:13]
	s_and_b64 exec, exec, vcc
	s_cbranch_execz .LBB3_1451
; %bb.1531:                             ;   in Loop: Header=BB3_1452 Depth=1
	s_mov_b64 s[0:1], 0
.LBB3_1532:                             ;   Parent Loop BB3_1452 Depth=1
                                        ; =>  This Inner Loop Header: Depth=2
	s_sleep 1
	global_store_dwordx2 v[2:3], v[10:11], off
	buffer_wbl2 sc0 sc1
	s_waitcnt vmcnt(0)
	global_atomic_cmpswap_x2 v[12:13], v27, v[8:11], s[26:27] offset:24 sc0 sc1
	s_waitcnt vmcnt(0)
	v_cmp_eq_u64_e32 vcc, v[12:13], v[10:11]
	s_or_b64 s[0:1], vcc, s[0:1]
	v_mov_b64_e32 v[10:11], v[12:13]
	s_andn2_b64 exec, exec, s[0:1]
	s_cbranch_execnz .LBB3_1532
	s_branch .LBB3_1451
.LBB3_1533:
	s_mov_b64 s[0:1], 0
	s_branch .LBB3_1535
.LBB3_1534:
	s_mov_b64 s[0:1], -1
.LBB3_1535:
	s_mov_b32 s34, s12
	s_mov_b32 s35, s13
	;; [unrolled: 1-line block ×3, first 2 shown]
	s_and_b64 vcc, exec, s[0:1]
	s_cbranch_vccz .LBB3_1562
; %bb.1536:
	v_readfirstlane_b32 s0, v37
	s_waitcnt vmcnt(0)
	v_mov_b64_e32 v[8:9], 0
	v_cmp_eq_u32_e64 s[0:1], s0, v37
	s_and_saveexec_b64 s[2:3], s[0:1]
	s_cbranch_execz .LBB3_1542
; %bb.1537:
	v_mov_b32_e32 v2, 0
	global_load_dwordx2 v[6:7], v2, s[26:27] offset:24 sc0 sc1
	s_waitcnt vmcnt(0)
	buffer_inv sc0 sc1
	global_load_dwordx2 v[4:5], v2, s[26:27] offset:40
	global_load_dwordx2 v[8:9], v2, s[26:27]
	s_waitcnt vmcnt(1)
	v_and_b32_e32 v3, v4, v6
	v_and_b32_e32 v4, v5, v7
	v_mul_lo_u32 v4, v4, 24
	v_mul_hi_u32 v5, v3, 24
	v_add_u32_e32 v5, v5, v4
	v_mul_lo_u32 v4, v3, 24
	s_waitcnt vmcnt(0)
	v_lshl_add_u64 v[4:5], v[8:9], 0, v[4:5]
	global_load_dwordx2 v[4:5], v[4:5], off sc0 sc1
	s_waitcnt vmcnt(0)
	global_atomic_cmpswap_x2 v[8:9], v2, v[4:7], s[26:27] offset:24 sc0 sc1
	s_waitcnt vmcnt(0)
	buffer_inv sc0 sc1
	v_cmp_ne_u64_e32 vcc, v[8:9], v[6:7]
	s_and_saveexec_b64 s[4:5], vcc
	s_cbranch_execz .LBB3_1541
; %bb.1538:
	s_mov_b64 s[6:7], 0
.LBB3_1539:                             ; =>This Inner Loop Header: Depth=1
	s_sleep 1
	global_load_dwordx2 v[4:5], v2, s[26:27] offset:40
	global_load_dwordx2 v[10:11], v2, s[26:27]
	v_mov_b64_e32 v[6:7], v[8:9]
	s_waitcnt vmcnt(1)
	v_and_b32_e32 v4, v4, v6
	v_and_b32_e32 v3, v5, v7
	s_waitcnt vmcnt(0)
	v_mad_u64_u32 v[4:5], s[10:11], v4, 24, v[10:11]
	v_mov_b32_e32 v8, v5
	v_mad_u64_u32 v[8:9], s[10:11], v3, 24, v[8:9]
	v_mov_b32_e32 v5, v8
	global_load_dwordx2 v[4:5], v[4:5], off sc0 sc1
	s_waitcnt vmcnt(0)
	global_atomic_cmpswap_x2 v[8:9], v2, v[4:7], s[26:27] offset:24 sc0 sc1
	s_waitcnt vmcnt(0)
	buffer_inv sc0 sc1
	v_cmp_eq_u64_e32 vcc, v[8:9], v[6:7]
	s_or_b64 s[6:7], vcc, s[6:7]
	s_andn2_b64 exec, exec, s[6:7]
	s_cbranch_execnz .LBB3_1539
; %bb.1540:
	s_or_b64 exec, exec, s[6:7]
.LBB3_1541:
	s_or_b64 exec, exec, s[4:5]
.LBB3_1542:
	s_or_b64 exec, exec, s[2:3]
	v_mov_b32_e32 v2, 0
	global_load_dwordx2 v[10:11], v2, s[26:27] offset:40
	global_load_dwordx4 v[4:7], v2, s[26:27]
	v_readfirstlane_b32 s2, v8
	v_readfirstlane_b32 s3, v9
	s_mov_b64 s[4:5], exec
	s_waitcnt vmcnt(1)
	v_readfirstlane_b32 s6, v10
	v_readfirstlane_b32 s7, v11
	s_and_b64 s[6:7], s[2:3], s[6:7]
	s_mul_i32 s10, s7, 24
	s_mul_hi_u32 s11, s6, 24
	s_add_i32 s11, s11, s10
	s_mul_i32 s10, s6, 24
	s_waitcnt vmcnt(0)
	v_lshl_add_u64 v[8:9], v[4:5], 0, s[10:11]
	s_and_saveexec_b64 s[10:11], s[0:1]
	s_cbranch_execz .LBB3_1544
; %bb.1543:
	v_mov_b64_e32 v[10:11], s[4:5]
	v_mov_b32_e32 v12, 2
	v_mov_b32_e32 v13, 1
	global_store_dwordx4 v[8:9], v[10:13], off offset:8
.LBB3_1544:
	s_or_b64 exec, exec, s[10:11]
	s_lshl_b64 s[4:5], s[6:7], 12
	v_lshl_add_u64 v[6:7], v[6:7], 0, s[4:5]
	s_movk_i32 s4, 0xff1d
	v_and_or_b32 v0, v0, s4, 34
	s_mov_b32 s4, 0
	v_mov_b32_e32 v3, v2
	v_readfirstlane_b32 s10, v6
	v_readfirstlane_b32 s11, v7
	s_mov_b32 s5, s4
	s_mov_b32 s6, s4
	;; [unrolled: 1-line block ×3, first 2 shown]
	s_nop 1
	global_store_dwordx4 v48, v[0:3], s[10:11]
	s_nop 1
	v_mov_b64_e32 v[0:1], s[4:5]
	v_mov_b64_e32 v[2:3], s[6:7]
	global_store_dwordx4 v48, v[0:3], s[10:11] offset:16
	global_store_dwordx4 v48, v[0:3], s[10:11] offset:32
	;; [unrolled: 1-line block ×3, first 2 shown]
	s_and_saveexec_b64 s[4:5], s[0:1]
	s_cbranch_execz .LBB3_1552
; %bb.1545:
	v_mov_b32_e32 v6, 0
	global_load_dwordx2 v[12:13], v6, s[26:27] offset:32 sc0 sc1
	global_load_dwordx2 v[0:1], v6, s[26:27] offset:40
	v_mov_b32_e32 v10, s2
	v_mov_b32_e32 v11, s3
	s_waitcnt vmcnt(0)
	v_readfirstlane_b32 s6, v0
	v_readfirstlane_b32 s7, v1
	s_and_b64 s[6:7], s[6:7], s[2:3]
	s_mul_i32 s7, s7, 24
	s_mul_hi_u32 s10, s6, 24
	s_mul_i32 s6, s6, 24
	s_add_i32 s7, s10, s7
	v_lshl_add_u64 v[4:5], v[4:5], 0, s[6:7]
	global_store_dwordx2 v[4:5], v[12:13], off
	buffer_wbl2 sc0 sc1
	s_waitcnt vmcnt(0)
	global_atomic_cmpswap_x2 v[2:3], v6, v[10:13], s[26:27] offset:32 sc0 sc1
	s_waitcnt vmcnt(0)
	v_cmp_ne_u64_e32 vcc, v[2:3], v[12:13]
	s_and_saveexec_b64 s[6:7], vcc
	s_cbranch_execz .LBB3_1548
; %bb.1546:
	s_mov_b64 s[10:11], 0
.LBB3_1547:                             ; =>This Inner Loop Header: Depth=1
	s_sleep 1
	global_store_dwordx2 v[4:5], v[2:3], off
	v_mov_b32_e32 v0, s2
	v_mov_b32_e32 v1, s3
	buffer_wbl2 sc0 sc1
	s_waitcnt vmcnt(0)
	global_atomic_cmpswap_x2 v[0:1], v6, v[0:3], s[26:27] offset:32 sc0 sc1
	s_waitcnt vmcnt(0)
	v_cmp_eq_u64_e32 vcc, v[0:1], v[2:3]
	s_or_b64 s[10:11], vcc, s[10:11]
	v_mov_b64_e32 v[2:3], v[0:1]
	s_andn2_b64 exec, exec, s[10:11]
	s_cbranch_execnz .LBB3_1547
.LBB3_1548:
	s_or_b64 exec, exec, s[6:7]
	v_mov_b32_e32 v3, 0
	global_load_dwordx2 v[0:1], v3, s[26:27] offset:16
	s_mov_b64 s[6:7], exec
	v_mbcnt_lo_u32_b32 v2, s6, 0
	v_mbcnt_hi_u32_b32 v2, s7, v2
	v_cmp_eq_u32_e32 vcc, 0, v2
	s_and_saveexec_b64 s[10:11], vcc
	s_cbranch_execz .LBB3_1550
; %bb.1549:
	s_bcnt1_i32_b64 s6, s[6:7]
	v_mov_b32_e32 v2, s6
	buffer_wbl2 sc0 sc1
	s_waitcnt vmcnt(0)
	global_atomic_add_x2 v[0:1], v[2:3], off offset:8 sc1
.LBB3_1550:
	s_or_b64 exec, exec, s[10:11]
	s_waitcnt vmcnt(0)
	global_load_dwordx2 v[2:3], v[0:1], off offset:16
	s_waitcnt vmcnt(0)
	v_cmp_eq_u64_e32 vcc, 0, v[2:3]
	s_cbranch_vccnz .LBB3_1552
; %bb.1551:
	global_load_dword v0, v[0:1], off offset:24
	v_mov_b32_e32 v1, 0
	buffer_wbl2 sc0 sc1
	s_waitcnt vmcnt(0)
	global_store_dwordx2 v[2:3], v[0:1], off sc0 sc1
	v_and_b32_e32 v0, 0xffffff, v0
	s_nop 0
	v_readfirstlane_b32 m0, v0
	s_sendmsg sendmsg(MSG_INTERRUPT)
.LBB3_1552:
	s_or_b64 exec, exec, s[4:5]
	s_branch .LBB3_1556
.LBB3_1553:                             ;   in Loop: Header=BB3_1556 Depth=1
	s_or_b64 exec, exec, s[4:5]
	v_readfirstlane_b32 s4, v0
	s_cmp_eq_u32 s4, 0
	s_cbranch_scc1 .LBB3_1555
; %bb.1554:                             ;   in Loop: Header=BB3_1556 Depth=1
	s_sleep 1
	s_cbranch_execnz .LBB3_1556
	s_branch .LBB3_1558
.LBB3_1555:
	s_branch .LBB3_1558
.LBB3_1556:                             ; =>This Inner Loop Header: Depth=1
	v_mov_b32_e32 v0, 1
	s_and_saveexec_b64 s[4:5], s[0:1]
	s_cbranch_execz .LBB3_1553
; %bb.1557:                             ;   in Loop: Header=BB3_1556 Depth=1
	global_load_dword v0, v[8:9], off offset:20 sc0 sc1
	s_waitcnt vmcnt(0)
	buffer_inv sc0 sc1
	v_and_b32_e32 v0, 1, v0
	s_branch .LBB3_1553
.LBB3_1558:
	s_and_saveexec_b64 s[4:5], s[0:1]
	s_cbranch_execz .LBB3_1561
; %bb.1559:
	v_mov_b32_e32 v6, 0
	global_load_dwordx2 v[4:5], v6, s[26:27] offset:40
	global_load_dwordx2 v[8:9], v6, s[26:27] offset:24 sc0 sc1
	global_load_dwordx2 v[10:11], v6, s[26:27]
	s_mov_b64 s[0:1], 0
	s_waitcnt vmcnt(2)
	v_lshl_add_u64 v[0:1], v[4:5], 0, 1
	v_lshl_add_u64 v[12:13], v[0:1], 0, s[2:3]
	v_cmp_eq_u64_e32 vcc, 0, v[12:13]
	s_waitcnt vmcnt(1)
	v_mov_b32_e32 v2, v8
	v_cndmask_b32_e32 v1, v13, v1, vcc
	v_cndmask_b32_e32 v0, v12, v0, vcc
	v_and_b32_e32 v3, v1, v5
	v_and_b32_e32 v4, v0, v4
	v_mul_lo_u32 v3, v3, 24
	v_mul_hi_u32 v5, v4, 24
	v_mul_lo_u32 v4, v4, 24
	v_add_u32_e32 v5, v5, v3
	s_waitcnt vmcnt(0)
	v_lshl_add_u64 v[4:5], v[10:11], 0, v[4:5]
	global_store_dwordx2 v[4:5], v[8:9], off
	v_mov_b32_e32 v3, v9
	buffer_wbl2 sc0 sc1
	s_waitcnt vmcnt(0)
	global_atomic_cmpswap_x2 v[2:3], v6, v[0:3], s[26:27] offset:24 sc0 sc1
	s_waitcnt vmcnt(0)
	v_cmp_ne_u64_e32 vcc, v[2:3], v[8:9]
	s_and_b64 exec, exec, vcc
	s_cbranch_execz .LBB3_1561
.LBB3_1560:                             ; =>This Inner Loop Header: Depth=1
	s_sleep 1
	global_store_dwordx2 v[4:5], v[2:3], off
	buffer_wbl2 sc0 sc1
	s_waitcnt vmcnt(0)
	global_atomic_cmpswap_x2 v[8:9], v6, v[0:3], s[26:27] offset:24 sc0 sc1
	s_waitcnt vmcnt(0)
	v_cmp_eq_u64_e32 vcc, v[8:9], v[2:3]
	s_or_b64 s[0:1], vcc, s[0:1]
	v_mov_b64_e32 v[2:3], v[8:9]
	s_andn2_b64 exec, exec, s[0:1]
	s_cbranch_execnz .LBB3_1560
.LBB3_1561:
	s_or_b64 exec, exec, s[4:5]
.LBB3_1562:
	s_getpc_b64 s[0:1]
	s_add_u32 s0, s0, .str.13@rel32@lo+4
	s_addc_u32 s1, s1, .str.13@rel32@hi+12
	s_waitcnt vmcnt(0)
	v_mov_b32_e32 v0, s0
	v_mov_b32_e32 v1, s1
	s_getpc_b64 s[38:39]
	s_add_u32 s38, s38, _ZNK8migraphx13basic_printerIZNS_4coutEvEUlT_E_ElsEPKc@rel32@lo+4
	s_addc_u32 s39, s39, _ZNK8migraphx13basic_printerIZNS_4coutEvEUlT_E_ElsEPKc@rel32@hi+12
	s_mov_b64 s[20:21], s[8:9]
	s_swappc_b64 s[30:31], s[38:39]
	s_getpc_b64 s[0:1]
	s_add_u32 s0, s0, .str.3@rel32@lo+4
	s_addc_u32 s1, s1, .str.3@rel32@hi+12
	s_mov_b64 s[8:9], s[20:21]
	v_mov_b32_e32 v0, s0
	v_mov_b32_e32 v1, s1
	s_swappc_b64 s[30:31], s[38:39]
	v_cndmask_b32_e64 v0, 0, 1, s[18:19]
	s_mov_b64 s[8:9], s[20:21]
	s_getpc_b64 s[0:1]
	s_add_u32 s0, s0, _ZN8migraphx4testlsIKNS_13basic_printerIZNS_4coutEvEUlT_E_EEEERS3_S7_RKNS0_14lhs_expressionIbNS0_3nopEEE@rel32@lo+4
	s_addc_u32 s1, s1, _ZN8migraphx4testlsIKNS_13basic_printerIZNS_4coutEvEUlT_E_EEEERS3_S7_RKNS0_14lhs_expressionIbNS0_3nopEEE@rel32@hi+12
	s_swappc_b64 s[30:31], s[0:1]
	s_getpc_b64 s[0:1]
	s_add_u32 s0, s0, .str.4@rel32@lo+4
	s_addc_u32 s1, s1, .str.4@rel32@hi+12
	s_mov_b64 s[8:9], s[20:21]
	v_mov_b32_e32 v0, s0
	v_mov_b32_e32 v1, s1
	s_mov_b64 s[18:19], s[20:21]
	s_swappc_b64 s[30:31], s[38:39]
	v_readfirstlane_b32 s0, v37
	v_mov_b64_e32 v[4:5], 0
	s_nop 0
	v_cmp_eq_u32_e64 s[0:1], s0, v37
	s_and_saveexec_b64 s[2:3], s[0:1]
	s_mov_b32 s14, s36
	s_mov_b32 s13, s35
	s_mov_b32 s12, s34
	s_cbranch_execz .LBB3_1568
; %bb.1563:
	v_mov_b32_e32 v0, 0
	global_load_dwordx2 v[6:7], v0, s[26:27] offset:24 sc0 sc1
	s_waitcnt vmcnt(0)
	buffer_inv sc0 sc1
	global_load_dwordx2 v[2:3], v0, s[26:27] offset:40
	global_load_dwordx2 v[4:5], v0, s[26:27]
	s_waitcnt vmcnt(1)
	v_and_b32_e32 v1, v2, v6
	v_and_b32_e32 v2, v3, v7
	v_mul_lo_u32 v2, v2, 24
	v_mul_hi_u32 v3, v1, 24
	v_add_u32_e32 v3, v3, v2
	v_mul_lo_u32 v2, v1, 24
	s_waitcnt vmcnt(0)
	v_lshl_add_u64 v[2:3], v[4:5], 0, v[2:3]
	global_load_dwordx2 v[4:5], v[2:3], off sc0 sc1
	s_waitcnt vmcnt(0)
	global_atomic_cmpswap_x2 v[4:5], v0, v[4:7], s[26:27] offset:24 sc0 sc1
	s_waitcnt vmcnt(0)
	buffer_inv sc0 sc1
	v_cmp_ne_u64_e32 vcc, v[4:5], v[6:7]
	s_and_saveexec_b64 s[4:5], vcc
	s_cbranch_execz .LBB3_1567
; %bb.1564:
	s_mov_b64 s[6:7], 0
.LBB3_1565:                             ; =>This Inner Loop Header: Depth=1
	s_sleep 1
	global_load_dwordx2 v[2:3], v0, s[26:27] offset:40
	global_load_dwordx2 v[8:9], v0, s[26:27]
	v_mov_b64_e32 v[6:7], v[4:5]
	s_waitcnt vmcnt(1)
	v_and_b32_e32 v2, v2, v6
	v_and_b32_e32 v1, v3, v7
	s_waitcnt vmcnt(0)
	v_mad_u64_u32 v[2:3], s[8:9], v2, 24, v[8:9]
	v_mov_b32_e32 v4, v3
	v_mad_u64_u32 v[4:5], s[8:9], v1, 24, v[4:5]
	v_mov_b32_e32 v3, v4
	global_load_dwordx2 v[4:5], v[2:3], off sc0 sc1
	s_waitcnt vmcnt(0)
	global_atomic_cmpswap_x2 v[4:5], v0, v[4:7], s[26:27] offset:24 sc0 sc1
	s_waitcnt vmcnt(0)
	buffer_inv sc0 sc1
	v_cmp_eq_u64_e32 vcc, v[4:5], v[6:7]
	s_or_b64 s[6:7], vcc, s[6:7]
	s_andn2_b64 exec, exec, s[6:7]
	s_cbranch_execnz .LBB3_1565
; %bb.1566:
	s_or_b64 exec, exec, s[6:7]
.LBB3_1567:
	s_or_b64 exec, exec, s[4:5]
.LBB3_1568:
	s_or_b64 exec, exec, s[2:3]
	v_mov_b32_e32 v49, 0
	global_load_dwordx2 v[6:7], v49, s[26:27] offset:40
	global_load_dwordx4 v[0:3], v49, s[26:27]
	v_readfirstlane_b32 s2, v4
	v_readfirstlane_b32 s3, v5
	s_mov_b64 s[4:5], exec
	s_waitcnt vmcnt(1)
	v_readfirstlane_b32 s6, v6
	v_readfirstlane_b32 s7, v7
	s_and_b64 s[6:7], s[2:3], s[6:7]
	s_mul_i32 s8, s7, 24
	s_mul_hi_u32 s9, s6, 24
	s_add_i32 s9, s9, s8
	s_mul_i32 s8, s6, 24
	s_waitcnt vmcnt(0)
	v_lshl_add_u64 v[4:5], v[0:1], 0, s[8:9]
	s_and_saveexec_b64 s[8:9], s[0:1]
	s_cbranch_execz .LBB3_1570
; %bb.1569:
	v_mov_b64_e32 v[6:7], s[4:5]
	v_mov_b32_e32 v8, 2
	v_mov_b32_e32 v9, 1
	global_store_dwordx4 v[4:5], v[6:9], off offset:8
.LBB3_1570:
	s_or_b64 exec, exec, s[8:9]
	s_lshl_b64 s[4:5], s[6:7], 12
	v_lshl_add_u64 v[6:7], v[2:3], 0, s[4:5]
	s_mov_b32 s4, 0
	v_mov_b32_e32 v8, 33
	v_mov_b32_e32 v9, v49
	;; [unrolled: 1-line block ×4, first 2 shown]
	v_readfirstlane_b32 s8, v6
	v_readfirstlane_b32 s9, v7
	s_mov_b32 s6, s4
	s_mov_b32 s7, s4
	;; [unrolled: 1-line block ×3, first 2 shown]
	s_nop 1
	global_store_dwordx4 v48, v[8:11], s[8:9]
	s_nop 1
	v_mov_b64_e32 v[10:11], s[6:7]
	v_mov_b64_e32 v[8:9], s[4:5]
	global_store_dwordx4 v48, v[8:11], s[8:9] offset:16
	global_store_dwordx4 v48, v[8:11], s[8:9] offset:32
	;; [unrolled: 1-line block ×3, first 2 shown]
	s_and_saveexec_b64 s[4:5], s[0:1]
	s_mov_b64 s[8:9], s[18:19]
	s_cbranch_execz .LBB3_1578
; %bb.1571:
	v_mov_b32_e32 v10, 0
	global_load_dwordx2 v[14:15], v10, s[26:27] offset:32 sc0 sc1
	global_load_dwordx2 v[2:3], v10, s[26:27] offset:40
	v_mov_b32_e32 v12, s2
	v_mov_b32_e32 v13, s3
	s_waitcnt vmcnt(0)
	v_readfirstlane_b32 s6, v2
	v_readfirstlane_b32 s7, v3
	s_and_b64 s[6:7], s[6:7], s[2:3]
	s_mul_i32 s7, s7, 24
	s_mul_hi_u32 s10, s6, 24
	s_mul_i32 s6, s6, 24
	s_add_i32 s7, s10, s7
	v_lshl_add_u64 v[8:9], v[0:1], 0, s[6:7]
	global_store_dwordx2 v[8:9], v[14:15], off
	buffer_wbl2 sc0 sc1
	s_waitcnt vmcnt(0)
	global_atomic_cmpswap_x2 v[2:3], v10, v[12:15], s[26:27] offset:32 sc0 sc1
	s_waitcnt vmcnt(0)
	v_cmp_ne_u64_e32 vcc, v[2:3], v[14:15]
	s_and_saveexec_b64 s[6:7], vcc
	s_cbranch_execz .LBB3_1574
; %bb.1572:
	s_mov_b64 s[10:11], 0
.LBB3_1573:                             ; =>This Inner Loop Header: Depth=1
	s_sleep 1
	global_store_dwordx2 v[8:9], v[2:3], off
	v_mov_b32_e32 v0, s2
	v_mov_b32_e32 v1, s3
	buffer_wbl2 sc0 sc1
	s_waitcnt vmcnt(0)
	global_atomic_cmpswap_x2 v[0:1], v10, v[0:3], s[26:27] offset:32 sc0 sc1
	s_waitcnt vmcnt(0)
	v_cmp_eq_u64_e32 vcc, v[0:1], v[2:3]
	s_or_b64 s[10:11], vcc, s[10:11]
	v_mov_b64_e32 v[2:3], v[0:1]
	s_andn2_b64 exec, exec, s[10:11]
	s_cbranch_execnz .LBB3_1573
.LBB3_1574:
	s_or_b64 exec, exec, s[6:7]
	v_mov_b32_e32 v3, 0
	global_load_dwordx2 v[0:1], v3, s[26:27] offset:16
	s_mov_b64 s[6:7], exec
	v_mbcnt_lo_u32_b32 v2, s6, 0
	v_mbcnt_hi_u32_b32 v2, s7, v2
	v_cmp_eq_u32_e32 vcc, 0, v2
	s_and_saveexec_b64 s[10:11], vcc
	s_cbranch_execz .LBB3_1576
; %bb.1575:
	s_bcnt1_i32_b64 s6, s[6:7]
	v_mov_b32_e32 v2, s6
	buffer_wbl2 sc0 sc1
	s_waitcnt vmcnt(0)
	global_atomic_add_x2 v[0:1], v[2:3], off offset:8 sc1
.LBB3_1576:
	s_or_b64 exec, exec, s[10:11]
	s_waitcnt vmcnt(0)
	global_load_dwordx2 v[2:3], v[0:1], off offset:16
	s_waitcnt vmcnt(0)
	v_cmp_eq_u64_e32 vcc, 0, v[2:3]
	s_cbranch_vccnz .LBB3_1578
; %bb.1577:
	global_load_dword v0, v[0:1], off offset:24
	v_mov_b32_e32 v1, 0
	buffer_wbl2 sc0 sc1
	s_waitcnt vmcnt(0)
	global_store_dwordx2 v[2:3], v[0:1], off sc0 sc1
	v_and_b32_e32 v0, 0xffffff, v0
	s_nop 0
	v_readfirstlane_b32 m0, v0
	s_sendmsg sendmsg(MSG_INTERRUPT)
.LBB3_1578:
	s_or_b64 exec, exec, s[4:5]
	v_lshl_add_u64 v[0:1], v[6:7], 0, v[48:49]
	s_branch .LBB3_1582
.LBB3_1579:                             ;   in Loop: Header=BB3_1582 Depth=1
	s_or_b64 exec, exec, s[4:5]
	v_readfirstlane_b32 s4, v2
	s_cmp_eq_u32 s4, 0
	s_cbranch_scc1 .LBB3_1581
; %bb.1580:                             ;   in Loop: Header=BB3_1582 Depth=1
	s_sleep 1
	s_cbranch_execnz .LBB3_1582
	s_branch .LBB3_1584
.LBB3_1581:
	s_branch .LBB3_1584
.LBB3_1582:                             ; =>This Inner Loop Header: Depth=1
	v_mov_b32_e32 v2, 1
	s_and_saveexec_b64 s[4:5], s[0:1]
	s_cbranch_execz .LBB3_1579
; %bb.1583:                             ;   in Loop: Header=BB3_1582 Depth=1
	global_load_dword v2, v[4:5], off offset:20 sc0 sc1
	s_waitcnt vmcnt(0)
	buffer_inv sc0 sc1
	v_and_b32_e32 v2, 1, v2
	s_branch .LBB3_1579
.LBB3_1584:
	global_load_dwordx2 v[0:1], v[0:1], off
	s_and_saveexec_b64 s[4:5], s[0:1]
	s_cbranch_execz .LBB3_1587
; %bb.1585:
	v_mov_b32_e32 v8, 0
	global_load_dwordx2 v[6:7], v8, s[26:27] offset:40
	global_load_dwordx2 v[10:11], v8, s[26:27] offset:24 sc0 sc1
	global_load_dwordx2 v[12:13], v8, s[26:27]
	s_mov_b64 s[0:1], 0
	s_waitcnt vmcnt(2)
	v_lshl_add_u64 v[2:3], v[6:7], 0, 1
	v_lshl_add_u64 v[14:15], v[2:3], 0, s[2:3]
	v_cmp_eq_u64_e32 vcc, 0, v[14:15]
	s_waitcnt vmcnt(1)
	v_mov_b32_e32 v4, v10
	v_cndmask_b32_e32 v3, v15, v3, vcc
	v_cndmask_b32_e32 v2, v14, v2, vcc
	v_and_b32_e32 v5, v3, v7
	v_and_b32_e32 v6, v2, v6
	v_mul_lo_u32 v5, v5, 24
	v_mul_hi_u32 v7, v6, 24
	v_mul_lo_u32 v6, v6, 24
	v_add_u32_e32 v7, v7, v5
	s_waitcnt vmcnt(0)
	v_lshl_add_u64 v[6:7], v[12:13], 0, v[6:7]
	global_store_dwordx2 v[6:7], v[10:11], off
	v_mov_b32_e32 v5, v11
	buffer_wbl2 sc0 sc1
	s_waitcnt vmcnt(0)
	global_atomic_cmpswap_x2 v[4:5], v8, v[2:5], s[26:27] offset:24 sc0 sc1
	s_waitcnt vmcnt(0)
	v_cmp_ne_u64_e32 vcc, v[4:5], v[10:11]
	s_and_b64 exec, exec, vcc
	s_cbranch_execz .LBB3_1587
.LBB3_1586:                             ; =>This Inner Loop Header: Depth=1
	s_sleep 1
	global_store_dwordx2 v[6:7], v[4:5], off
	buffer_wbl2 sc0 sc1
	s_waitcnt vmcnt(0)
	global_atomic_cmpswap_x2 v[10:11], v8, v[2:5], s[26:27] offset:24 sc0 sc1
	s_waitcnt vmcnt(0)
	v_cmp_eq_u64_e32 vcc, v[10:11], v[4:5]
	s_or_b64 s[0:1], vcc, s[0:1]
	v_mov_b64_e32 v[4:5], v[10:11]
	s_andn2_b64 exec, exec, s[0:1]
	s_cbranch_execnz .LBB3_1586
.LBB3_1587:
	s_or_b64 exec, exec, s[4:5]
	s_and_b64 vcc, exec, s[28:29]
	s_cbranch_vccz .LBB3_1672
; %bb.1588:
	s_waitcnt vmcnt(0)
	v_and_b32_e32 v28, 2, v0
	v_mov_b32_e32 v31, 0
	v_and_b32_e32 v2, -3, v0
	v_mov_b32_e32 v3, v1
	s_mov_b64 s[4:5], 3
	v_mov_b32_e32 v6, 2
	v_mov_b32_e32 v7, 1
	s_getpc_b64 s[2:3]
	s_add_u32 s2, s2, .str.6@rel32@lo+4
	s_addc_u32 s3, s3, .str.6@rel32@hi+12
	s_branch .LBB3_1590
.LBB3_1589:                             ;   in Loop: Header=BB3_1590 Depth=1
	s_or_b64 exec, exec, s[16:17]
	s_sub_u32 s4, s4, s6
	s_subb_u32 s5, s5, s7
	s_add_u32 s2, s2, s6
	s_addc_u32 s3, s3, s7
	s_cmp_lg_u64 s[4:5], 0
	s_cbranch_scc0 .LBB3_1671
.LBB3_1590:                             ; =>This Loop Header: Depth=1
                                        ;     Child Loop BB3_1593 Depth 2
                                        ;     Child Loop BB3_1600 Depth 2
	;; [unrolled: 1-line block ×11, first 2 shown]
	v_cmp_lt_u64_e64 s[0:1], s[4:5], 56
	s_and_b64 s[0:1], s[0:1], exec
	v_cmp_gt_u64_e64 s[0:1], s[4:5], 7
	s_cselect_b32 s7, s5, 0
	s_cselect_b32 s6, s4, 56
	s_and_b64 vcc, exec, s[0:1]
	s_cbranch_vccnz .LBB3_1595
; %bb.1591:                             ;   in Loop: Header=BB3_1590 Depth=1
	s_mov_b64 s[0:1], 0
	s_cmp_eq_u64 s[4:5], 0
	v_mov_b64_e32 v[10:11], 0
	s_cbranch_scc1 .LBB3_1594
; %bb.1592:                             ;   in Loop: Header=BB3_1590 Depth=1
	s_lshl_b64 s[10:11], s[6:7], 3
	s_mov_b64 s[16:17], 0
	v_mov_b64_e32 v[10:11], 0
	s_mov_b64 s[18:19], s[2:3]
.LBB3_1593:                             ;   Parent Loop BB3_1590 Depth=1
                                        ; =>  This Inner Loop Header: Depth=2
	global_load_ubyte v4, v31, s[18:19]
	s_waitcnt vmcnt(0)
	v_and_b32_e32 v30, 0xffff, v4
	v_lshlrev_b64 v[4:5], s16, v[30:31]
	s_add_u32 s16, s16, 8
	s_addc_u32 s17, s17, 0
	s_add_u32 s18, s18, 1
	s_addc_u32 s19, s19, 0
	v_or_b32_e32 v10, v4, v10
	s_cmp_lg_u32 s10, s16
	v_or_b32_e32 v11, v5, v11
	s_cbranch_scc1 .LBB3_1593
.LBB3_1594:                             ;   in Loop: Header=BB3_1590 Depth=1
	s_mov_b32 s15, 0
	s_andn2_b64 vcc, exec, s[0:1]
	s_mov_b64 s[0:1], s[2:3]
	s_cbranch_vccz .LBB3_1596
	s_branch .LBB3_1597
.LBB3_1595:                             ;   in Loop: Header=BB3_1590 Depth=1
                                        ; implicit-def: $vgpr10_vgpr11
                                        ; implicit-def: $sgpr15
	s_mov_b64 s[0:1], s[2:3]
.LBB3_1596:                             ;   in Loop: Header=BB3_1590 Depth=1
	global_load_dwordx2 v[10:11], v31, s[2:3]
	s_add_i32 s15, s6, -8
	s_add_u32 s0, s2, 8
	s_addc_u32 s1, s3, 0
.LBB3_1597:                             ;   in Loop: Header=BB3_1590 Depth=1
	s_cmp_gt_u32 s15, 7
	s_cbranch_scc1 .LBB3_1601
; %bb.1598:                             ;   in Loop: Header=BB3_1590 Depth=1
	s_cmp_eq_u32 s15, 0
	s_cbranch_scc1 .LBB3_1602
; %bb.1599:                             ;   in Loop: Header=BB3_1590 Depth=1
	s_mov_b64 s[10:11], 0
	v_mov_b64_e32 v[12:13], 0
	s_mov_b64 s[16:17], 0
.LBB3_1600:                             ;   Parent Loop BB3_1590 Depth=1
                                        ; =>  This Inner Loop Header: Depth=2
	s_add_u32 s18, s0, s16
	s_addc_u32 s19, s1, s17
	global_load_ubyte v4, v31, s[18:19]
	s_add_u32 s16, s16, 1
	s_addc_u32 s17, s17, 0
	s_waitcnt vmcnt(0)
	v_and_b32_e32 v30, 0xffff, v4
	v_lshlrev_b64 v[4:5], s10, v[30:31]
	s_add_u32 s10, s10, 8
	s_addc_u32 s11, s11, 0
	v_or_b32_e32 v12, v4, v12
	s_cmp_lg_u32 s15, s16
	v_or_b32_e32 v13, v5, v13
	s_cbranch_scc1 .LBB3_1600
	s_branch .LBB3_1603
.LBB3_1601:                             ;   in Loop: Header=BB3_1590 Depth=1
                                        ; implicit-def: $vgpr12_vgpr13
                                        ; implicit-def: $sgpr18
	s_branch .LBB3_1604
.LBB3_1602:                             ;   in Loop: Header=BB3_1590 Depth=1
	v_mov_b64_e32 v[12:13], 0
.LBB3_1603:                             ;   in Loop: Header=BB3_1590 Depth=1
	s_mov_b32 s18, 0
	s_cbranch_execnz .LBB3_1605
.LBB3_1604:                             ;   in Loop: Header=BB3_1590 Depth=1
	global_load_dwordx2 v[12:13], v31, s[0:1]
	s_add_i32 s18, s15, -8
	s_add_u32 s0, s0, 8
	s_addc_u32 s1, s1, 0
.LBB3_1605:                             ;   in Loop: Header=BB3_1590 Depth=1
	s_cmp_gt_u32 s18, 7
	s_cbranch_scc1 .LBB3_1609
; %bb.1606:                             ;   in Loop: Header=BB3_1590 Depth=1
	s_cmp_eq_u32 s18, 0
	s_cbranch_scc1 .LBB3_1610
; %bb.1607:                             ;   in Loop: Header=BB3_1590 Depth=1
	s_mov_b64 s[10:11], 0
	v_mov_b64_e32 v[14:15], 0
	s_mov_b64 s[16:17], 0
.LBB3_1608:                             ;   Parent Loop BB3_1590 Depth=1
                                        ; =>  This Inner Loop Header: Depth=2
	s_add_u32 s20, s0, s16
	s_addc_u32 s21, s1, s17
	global_load_ubyte v4, v31, s[20:21]
	s_add_u32 s16, s16, 1
	s_addc_u32 s17, s17, 0
	s_waitcnt vmcnt(0)
	v_and_b32_e32 v30, 0xffff, v4
	v_lshlrev_b64 v[4:5], s10, v[30:31]
	s_add_u32 s10, s10, 8
	s_addc_u32 s11, s11, 0
	v_or_b32_e32 v14, v4, v14
	s_cmp_lg_u32 s18, s16
	v_or_b32_e32 v15, v5, v15
	s_cbranch_scc1 .LBB3_1608
	s_branch .LBB3_1611
.LBB3_1609:                             ;   in Loop: Header=BB3_1590 Depth=1
                                        ; implicit-def: $sgpr15
	s_branch .LBB3_1612
.LBB3_1610:                             ;   in Loop: Header=BB3_1590 Depth=1
	v_mov_b64_e32 v[14:15], 0
.LBB3_1611:                             ;   in Loop: Header=BB3_1590 Depth=1
	s_mov_b32 s15, 0
	s_cbranch_execnz .LBB3_1613
.LBB3_1612:                             ;   in Loop: Header=BB3_1590 Depth=1
	global_load_dwordx2 v[14:15], v31, s[0:1]
	s_add_i32 s15, s18, -8
	s_add_u32 s0, s0, 8
	s_addc_u32 s1, s1, 0
.LBB3_1613:                             ;   in Loop: Header=BB3_1590 Depth=1
	s_cmp_gt_u32 s15, 7
	s_cbranch_scc1 .LBB3_1617
; %bb.1614:                             ;   in Loop: Header=BB3_1590 Depth=1
	s_cmp_eq_u32 s15, 0
	s_cbranch_scc1 .LBB3_1618
; %bb.1615:                             ;   in Loop: Header=BB3_1590 Depth=1
	s_mov_b64 s[10:11], 0
	v_mov_b64_e32 v[16:17], 0
	s_mov_b64 s[16:17], 0
.LBB3_1616:                             ;   Parent Loop BB3_1590 Depth=1
                                        ; =>  This Inner Loop Header: Depth=2
	s_add_u32 s18, s0, s16
	s_addc_u32 s19, s1, s17
	global_load_ubyte v4, v31, s[18:19]
	s_add_u32 s16, s16, 1
	s_addc_u32 s17, s17, 0
	s_waitcnt vmcnt(0)
	v_and_b32_e32 v30, 0xffff, v4
	v_lshlrev_b64 v[4:5], s10, v[30:31]
	s_add_u32 s10, s10, 8
	s_addc_u32 s11, s11, 0
	v_or_b32_e32 v16, v4, v16
	s_cmp_lg_u32 s15, s16
	v_or_b32_e32 v17, v5, v17
	s_cbranch_scc1 .LBB3_1616
	s_branch .LBB3_1619
.LBB3_1617:                             ;   in Loop: Header=BB3_1590 Depth=1
                                        ; implicit-def: $vgpr16_vgpr17
                                        ; implicit-def: $sgpr18
	s_branch .LBB3_1620
.LBB3_1618:                             ;   in Loop: Header=BB3_1590 Depth=1
	v_mov_b64_e32 v[16:17], 0
.LBB3_1619:                             ;   in Loop: Header=BB3_1590 Depth=1
	s_mov_b32 s18, 0
	s_cbranch_execnz .LBB3_1621
.LBB3_1620:                             ;   in Loop: Header=BB3_1590 Depth=1
	global_load_dwordx2 v[16:17], v31, s[0:1]
	s_add_i32 s18, s15, -8
	s_add_u32 s0, s0, 8
	s_addc_u32 s1, s1, 0
.LBB3_1621:                             ;   in Loop: Header=BB3_1590 Depth=1
	s_cmp_gt_u32 s18, 7
	s_cbranch_scc1 .LBB3_1625
; %bb.1622:                             ;   in Loop: Header=BB3_1590 Depth=1
	s_cmp_eq_u32 s18, 0
	s_cbranch_scc1 .LBB3_1626
; %bb.1623:                             ;   in Loop: Header=BB3_1590 Depth=1
	s_mov_b64 s[10:11], 0
	v_mov_b64_e32 v[18:19], 0
	s_mov_b64 s[16:17], 0
.LBB3_1624:                             ;   Parent Loop BB3_1590 Depth=1
                                        ; =>  This Inner Loop Header: Depth=2
	s_add_u32 s20, s0, s16
	s_addc_u32 s21, s1, s17
	global_load_ubyte v4, v31, s[20:21]
	s_add_u32 s16, s16, 1
	s_addc_u32 s17, s17, 0
	s_waitcnt vmcnt(0)
	v_and_b32_e32 v30, 0xffff, v4
	v_lshlrev_b64 v[4:5], s10, v[30:31]
	s_add_u32 s10, s10, 8
	s_addc_u32 s11, s11, 0
	v_or_b32_e32 v18, v4, v18
	s_cmp_lg_u32 s18, s16
	v_or_b32_e32 v19, v5, v19
	s_cbranch_scc1 .LBB3_1624
	s_branch .LBB3_1627
.LBB3_1625:                             ;   in Loop: Header=BB3_1590 Depth=1
                                        ; implicit-def: $sgpr15
	s_branch .LBB3_1628
.LBB3_1626:                             ;   in Loop: Header=BB3_1590 Depth=1
	v_mov_b64_e32 v[18:19], 0
.LBB3_1627:                             ;   in Loop: Header=BB3_1590 Depth=1
	s_mov_b32 s15, 0
	s_cbranch_execnz .LBB3_1629
.LBB3_1628:                             ;   in Loop: Header=BB3_1590 Depth=1
	global_load_dwordx2 v[18:19], v31, s[0:1]
	s_add_i32 s15, s18, -8
	s_add_u32 s0, s0, 8
	s_addc_u32 s1, s1, 0
.LBB3_1629:                             ;   in Loop: Header=BB3_1590 Depth=1
	s_cmp_gt_u32 s15, 7
	s_cbranch_scc1 .LBB3_1633
; %bb.1630:                             ;   in Loop: Header=BB3_1590 Depth=1
	s_cmp_eq_u32 s15, 0
	s_cbranch_scc1 .LBB3_1634
; %bb.1631:                             ;   in Loop: Header=BB3_1590 Depth=1
	s_mov_b64 s[10:11], 0
	v_mov_b64_e32 v[20:21], 0
	s_mov_b64 s[16:17], 0
.LBB3_1632:                             ;   Parent Loop BB3_1590 Depth=1
                                        ; =>  This Inner Loop Header: Depth=2
	s_add_u32 s18, s0, s16
	s_addc_u32 s19, s1, s17
	global_load_ubyte v4, v31, s[18:19]
	s_add_u32 s16, s16, 1
	s_addc_u32 s17, s17, 0
	s_waitcnt vmcnt(0)
	v_and_b32_e32 v30, 0xffff, v4
	v_lshlrev_b64 v[4:5], s10, v[30:31]
	s_add_u32 s10, s10, 8
	s_addc_u32 s11, s11, 0
	v_or_b32_e32 v20, v4, v20
	s_cmp_lg_u32 s15, s16
	v_or_b32_e32 v21, v5, v21
	s_cbranch_scc1 .LBB3_1632
	s_branch .LBB3_1635
.LBB3_1633:                             ;   in Loop: Header=BB3_1590 Depth=1
                                        ; implicit-def: $vgpr20_vgpr21
                                        ; implicit-def: $sgpr18
	s_branch .LBB3_1636
.LBB3_1634:                             ;   in Loop: Header=BB3_1590 Depth=1
	v_mov_b64_e32 v[20:21], 0
.LBB3_1635:                             ;   in Loop: Header=BB3_1590 Depth=1
	s_mov_b32 s18, 0
	s_cbranch_execnz .LBB3_1637
.LBB3_1636:                             ;   in Loop: Header=BB3_1590 Depth=1
	global_load_dwordx2 v[20:21], v31, s[0:1]
	s_add_i32 s18, s15, -8
	s_add_u32 s0, s0, 8
	s_addc_u32 s1, s1, 0
.LBB3_1637:                             ;   in Loop: Header=BB3_1590 Depth=1
	s_cmp_gt_u32 s18, 7
	s_cbranch_scc1 .LBB3_1641
; %bb.1638:                             ;   in Loop: Header=BB3_1590 Depth=1
	s_cmp_eq_u32 s18, 0
	s_cbranch_scc1 .LBB3_1642
; %bb.1639:                             ;   in Loop: Header=BB3_1590 Depth=1
	s_mov_b64 s[10:11], 0
	v_mov_b64_e32 v[22:23], 0
	s_mov_b64 s[16:17], s[0:1]
.LBB3_1640:                             ;   Parent Loop BB3_1590 Depth=1
                                        ; =>  This Inner Loop Header: Depth=2
	global_load_ubyte v4, v31, s[16:17]
	s_add_i32 s18, s18, -1
	s_waitcnt vmcnt(0)
	v_and_b32_e32 v30, 0xffff, v4
	v_lshlrev_b64 v[4:5], s10, v[30:31]
	s_add_u32 s10, s10, 8
	s_addc_u32 s11, s11, 0
	s_add_u32 s16, s16, 1
	s_addc_u32 s17, s17, 0
	v_or_b32_e32 v22, v4, v22
	s_cmp_lg_u32 s18, 0
	v_or_b32_e32 v23, v5, v23
	s_cbranch_scc1 .LBB3_1640
	s_branch .LBB3_1643
.LBB3_1641:                             ;   in Loop: Header=BB3_1590 Depth=1
	s_branch .LBB3_1644
.LBB3_1642:                             ;   in Loop: Header=BB3_1590 Depth=1
	v_mov_b64_e32 v[22:23], 0
.LBB3_1643:                             ;   in Loop: Header=BB3_1590 Depth=1
	s_cbranch_execnz .LBB3_1645
.LBB3_1644:                             ;   in Loop: Header=BB3_1590 Depth=1
	global_load_dwordx2 v[22:23], v31, s[0:1]
.LBB3_1645:                             ;   in Loop: Header=BB3_1590 Depth=1
	v_readfirstlane_b32 s0, v37
	s_waitcnt vmcnt(0)
	v_mov_b64_e32 v[4:5], 0
	v_cmp_eq_u32_e64 s[0:1], s0, v37
	s_and_saveexec_b64 s[10:11], s[0:1]
	s_cbranch_execz .LBB3_1651
; %bb.1646:                             ;   in Loop: Header=BB3_1590 Depth=1
	global_load_dwordx2 v[26:27], v31, s[26:27] offset:24 sc0 sc1
	s_waitcnt vmcnt(0)
	buffer_inv sc0 sc1
	global_load_dwordx2 v[4:5], v31, s[26:27] offset:40
	global_load_dwordx2 v[8:9], v31, s[26:27]
	s_waitcnt vmcnt(1)
	v_and_b32_e32 v4, v4, v26
	v_and_b32_e32 v5, v5, v27
	v_mul_lo_u32 v5, v5, 24
	v_mul_hi_u32 v24, v4, 24
	v_add_u32_e32 v5, v24, v5
	v_mul_lo_u32 v4, v4, 24
	s_waitcnt vmcnt(0)
	v_lshl_add_u64 v[4:5], v[8:9], 0, v[4:5]
	global_load_dwordx2 v[24:25], v[4:5], off sc0 sc1
	s_waitcnt vmcnt(0)
	global_atomic_cmpswap_x2 v[4:5], v31, v[24:27], s[26:27] offset:24 sc0 sc1
	s_waitcnt vmcnt(0)
	buffer_inv sc0 sc1
	v_cmp_ne_u64_e32 vcc, v[4:5], v[26:27]
	s_and_saveexec_b64 s[16:17], vcc
	s_cbranch_execz .LBB3_1650
; %bb.1647:                             ;   in Loop: Header=BB3_1590 Depth=1
	s_mov_b64 s[18:19], 0
.LBB3_1648:                             ;   Parent Loop BB3_1590 Depth=1
                                        ; =>  This Inner Loop Header: Depth=2
	s_sleep 1
	global_load_dwordx2 v[8:9], v31, s[26:27] offset:40
	global_load_dwordx2 v[24:25], v31, s[26:27]
	v_mov_b64_e32 v[26:27], v[4:5]
	s_waitcnt vmcnt(1)
	v_and_b32_e32 v4, v8, v26
	s_waitcnt vmcnt(0)
	v_mad_u64_u32 v[4:5], s[20:21], v4, 24, v[24:25]
	v_and_b32_e32 v9, v9, v27
	v_mov_b32_e32 v8, v5
	v_mad_u64_u32 v[8:9], s[20:21], v9, 24, v[8:9]
	v_mov_b32_e32 v5, v8
	global_load_dwordx2 v[24:25], v[4:5], off sc0 sc1
	s_waitcnt vmcnt(0)
	global_atomic_cmpswap_x2 v[4:5], v31, v[24:27], s[26:27] offset:24 sc0 sc1
	s_waitcnt vmcnt(0)
	buffer_inv sc0 sc1
	v_cmp_eq_u64_e32 vcc, v[4:5], v[26:27]
	s_or_b64 s[18:19], vcc, s[18:19]
	s_andn2_b64 exec, exec, s[18:19]
	s_cbranch_execnz .LBB3_1648
; %bb.1649:                             ;   in Loop: Header=BB3_1590 Depth=1
	s_or_b64 exec, exec, s[18:19]
.LBB3_1650:                             ;   in Loop: Header=BB3_1590 Depth=1
	s_or_b64 exec, exec, s[16:17]
.LBB3_1651:                             ;   in Loop: Header=BB3_1590 Depth=1
	s_or_b64 exec, exec, s[10:11]
	global_load_dwordx2 v[8:9], v31, s[26:27] offset:40
	global_load_dwordx4 v[24:27], v31, s[26:27]
	v_readfirstlane_b32 s10, v4
	v_readfirstlane_b32 s11, v5
	s_mov_b64 s[16:17], exec
	s_waitcnt vmcnt(1)
	v_readfirstlane_b32 s18, v8
	v_readfirstlane_b32 s19, v9
	s_and_b64 s[18:19], s[10:11], s[18:19]
	s_mul_i32 s15, s19, 24
	s_mul_hi_u32 s20, s18, 24
	s_add_i32 s21, s20, s15
	s_mul_i32 s20, s18, 24
	s_waitcnt vmcnt(0)
	v_lshl_add_u64 v[32:33], v[24:25], 0, s[20:21]
	s_and_saveexec_b64 s[20:21], s[0:1]
	s_cbranch_execz .LBB3_1653
; %bb.1652:                             ;   in Loop: Header=BB3_1590 Depth=1
	v_mov_b64_e32 v[4:5], s[16:17]
	global_store_dwordx4 v[32:33], v[4:7], off offset:8
.LBB3_1653:                             ;   in Loop: Header=BB3_1590 Depth=1
	s_or_b64 exec, exec, s[20:21]
	s_nop 0
	v_or_b32_e32 v5, v2, v28
	v_cmp_gt_u64_e64 vcc, s[4:5], 56
	s_lshl_b32 s15, s6, 2
	s_lshl_b64 s[16:17], s[18:19], 12
	v_cndmask_b32_e32 v2, v5, v2, vcc
	s_add_i32 s15, s15, 28
	v_lshl_add_u64 v[26:27], v[26:27], 0, s[16:17]
	v_or_b32_e32 v4, 0, v3
	s_and_b32 s15, s15, 0x1e0
	v_and_b32_e32 v2, 0xffffff1f, v2
	v_cndmask_b32_e32 v9, v4, v3, vcc
	v_or_b32_e32 v8, s15, v2
	v_readfirstlane_b32 s16, v26
	v_readfirstlane_b32 s17, v27
	s_nop 4
	global_store_dwordx4 v48, v[8:11], s[16:17]
	global_store_dwordx4 v48, v[12:15], s[16:17] offset:16
	global_store_dwordx4 v48, v[16:19], s[16:17] offset:32
	;; [unrolled: 1-line block ×3, first 2 shown]
	s_and_saveexec_b64 s[16:17], s[0:1]
	s_cbranch_execz .LBB3_1661
; %bb.1654:                             ;   in Loop: Header=BB3_1590 Depth=1
	global_load_dwordx2 v[12:13], v31, s[26:27] offset:32 sc0 sc1
	global_load_dwordx2 v[2:3], v31, s[26:27] offset:40
	v_mov_b32_e32 v10, s10
	v_mov_b32_e32 v11, s11
	s_waitcnt vmcnt(0)
	v_readfirstlane_b32 s18, v2
	v_readfirstlane_b32 s19, v3
	s_and_b64 s[18:19], s[18:19], s[10:11]
	s_mul_i32 s15, s19, 24
	s_mul_hi_u32 s19, s18, 24
	s_mul_i32 s18, s18, 24
	s_add_i32 s19, s19, s15
	v_lshl_add_u64 v[8:9], v[24:25], 0, s[18:19]
	global_store_dwordx2 v[8:9], v[12:13], off
	buffer_wbl2 sc0 sc1
	s_waitcnt vmcnt(0)
	global_atomic_cmpswap_x2 v[4:5], v31, v[10:13], s[26:27] offset:32 sc0 sc1
	s_waitcnt vmcnt(0)
	v_cmp_ne_u64_e32 vcc, v[4:5], v[12:13]
	s_and_saveexec_b64 s[18:19], vcc
	s_cbranch_execz .LBB3_1657
; %bb.1655:                             ;   in Loop: Header=BB3_1590 Depth=1
	s_mov_b64 s[20:21], 0
.LBB3_1656:                             ;   Parent Loop BB3_1590 Depth=1
                                        ; =>  This Inner Loop Header: Depth=2
	s_sleep 1
	global_store_dwordx2 v[8:9], v[4:5], off
	v_mov_b32_e32 v2, s10
	v_mov_b32_e32 v3, s11
	buffer_wbl2 sc0 sc1
	s_waitcnt vmcnt(0)
	global_atomic_cmpswap_x2 v[2:3], v31, v[2:5], s[26:27] offset:32 sc0 sc1
	s_waitcnt vmcnt(0)
	v_cmp_eq_u64_e32 vcc, v[2:3], v[4:5]
	s_or_b64 s[20:21], vcc, s[20:21]
	v_mov_b64_e32 v[4:5], v[2:3]
	s_andn2_b64 exec, exec, s[20:21]
	s_cbranch_execnz .LBB3_1656
.LBB3_1657:                             ;   in Loop: Header=BB3_1590 Depth=1
	s_or_b64 exec, exec, s[18:19]
	global_load_dwordx2 v[2:3], v31, s[26:27] offset:16
	s_mov_b64 s[20:21], exec
	v_mbcnt_lo_u32_b32 v4, s20, 0
	v_mbcnt_hi_u32_b32 v4, s21, v4
	v_cmp_eq_u32_e32 vcc, 0, v4
	s_and_saveexec_b64 s[18:19], vcc
	s_cbranch_execz .LBB3_1659
; %bb.1658:                             ;   in Loop: Header=BB3_1590 Depth=1
	s_bcnt1_i32_b64 s15, s[20:21]
	v_mov_b32_e32 v30, s15
	buffer_wbl2 sc0 sc1
	s_waitcnt vmcnt(0)
	global_atomic_add_x2 v[2:3], v[30:31], off offset:8 sc1
.LBB3_1659:                             ;   in Loop: Header=BB3_1590 Depth=1
	s_or_b64 exec, exec, s[18:19]
	s_waitcnt vmcnt(0)
	global_load_dwordx2 v[4:5], v[2:3], off offset:16
	s_waitcnt vmcnt(0)
	v_cmp_eq_u64_e32 vcc, 0, v[4:5]
	s_cbranch_vccnz .LBB3_1661
; %bb.1660:                             ;   in Loop: Header=BB3_1590 Depth=1
	global_load_dword v30, v[2:3], off offset:24
	s_waitcnt vmcnt(0)
	v_and_b32_e32 v2, 0xffffff, v30
	s_nop 0
	v_readfirstlane_b32 m0, v2
	buffer_wbl2 sc0 sc1
	global_store_dwordx2 v[4:5], v[30:31], off sc0 sc1
	s_sendmsg sendmsg(MSG_INTERRUPT)
.LBB3_1661:                             ;   in Loop: Header=BB3_1590 Depth=1
	s_or_b64 exec, exec, s[16:17]
	v_mov_b32_e32 v49, v31
	v_lshl_add_u64 v[2:3], v[26:27], 0, v[48:49]
	s_branch .LBB3_1665
.LBB3_1662:                             ;   in Loop: Header=BB3_1665 Depth=2
	s_or_b64 exec, exec, s[16:17]
	v_readfirstlane_b32 s15, v4
	s_cmp_eq_u32 s15, 0
	s_cbranch_scc1 .LBB3_1664
; %bb.1663:                             ;   in Loop: Header=BB3_1665 Depth=2
	s_sleep 1
	s_cbranch_execnz .LBB3_1665
	s_branch .LBB3_1667
.LBB3_1664:                             ;   in Loop: Header=BB3_1590 Depth=1
	s_branch .LBB3_1667
.LBB3_1665:                             ;   Parent Loop BB3_1590 Depth=1
                                        ; =>  This Inner Loop Header: Depth=2
	v_mov_b32_e32 v4, 1
	s_and_saveexec_b64 s[16:17], s[0:1]
	s_cbranch_execz .LBB3_1662
; %bb.1666:                             ;   in Loop: Header=BB3_1665 Depth=2
	global_load_dword v4, v[32:33], off offset:20 sc0 sc1
	s_waitcnt vmcnt(0)
	buffer_inv sc0 sc1
	v_and_b32_e32 v4, 1, v4
	s_branch .LBB3_1662
.LBB3_1667:                             ;   in Loop: Header=BB3_1590 Depth=1
	global_load_dwordx4 v[2:5], v[2:3], off
	s_and_saveexec_b64 s[16:17], s[0:1]
	s_cbranch_execz .LBB3_1589
; %bb.1668:                             ;   in Loop: Header=BB3_1590 Depth=1
	global_load_dwordx2 v[4:5], v31, s[26:27] offset:40
	global_load_dwordx2 v[12:13], v31, s[26:27] offset:24 sc0 sc1
	global_load_dwordx2 v[14:15], v31, s[26:27]
	s_waitcnt vmcnt(2)
	v_lshl_add_u64 v[8:9], v[4:5], 0, 1
	v_lshl_add_u64 v[16:17], v[8:9], 0, s[10:11]
	v_cmp_eq_u64_e32 vcc, 0, v[16:17]
	s_waitcnt vmcnt(1)
	v_mov_b32_e32 v10, v12
	v_cndmask_b32_e32 v9, v17, v9, vcc
	v_cndmask_b32_e32 v8, v16, v8, vcc
	v_and_b32_e32 v5, v9, v5
	v_and_b32_e32 v4, v8, v4
	v_mul_lo_u32 v5, v5, 24
	v_mul_hi_u32 v11, v4, 24
	v_mul_lo_u32 v4, v4, 24
	v_add_u32_e32 v5, v11, v5
	s_waitcnt vmcnt(0)
	v_lshl_add_u64 v[4:5], v[14:15], 0, v[4:5]
	global_store_dwordx2 v[4:5], v[12:13], off
	v_mov_b32_e32 v11, v13
	buffer_wbl2 sc0 sc1
	s_waitcnt vmcnt(0)
	global_atomic_cmpswap_x2 v[10:11], v31, v[8:11], s[26:27] offset:24 sc0 sc1
	s_waitcnt vmcnt(0)
	v_cmp_ne_u64_e32 vcc, v[10:11], v[12:13]
	s_and_b64 exec, exec, vcc
	s_cbranch_execz .LBB3_1589
; %bb.1669:                             ;   in Loop: Header=BB3_1590 Depth=1
	s_mov_b64 s[0:1], 0
.LBB3_1670:                             ;   Parent Loop BB3_1590 Depth=1
                                        ; =>  This Inner Loop Header: Depth=2
	s_sleep 1
	global_store_dwordx2 v[4:5], v[10:11], off
	buffer_wbl2 sc0 sc1
	s_waitcnt vmcnt(0)
	global_atomic_cmpswap_x2 v[12:13], v31, v[8:11], s[26:27] offset:24 sc0 sc1
	s_waitcnt vmcnt(0)
	v_cmp_eq_u64_e32 vcc, v[12:13], v[10:11]
	s_or_b64 s[0:1], vcc, s[0:1]
	v_mov_b64_e32 v[10:11], v[12:13]
	s_andn2_b64 exec, exec, s[0:1]
	s_cbranch_execnz .LBB3_1670
	s_branch .LBB3_1589
.LBB3_1671:
	s_branch .LBB3_1699
.LBB3_1672:
                                        ; implicit-def: $vgpr2_vgpr3
	s_cbranch_execz .LBB3_1699
; %bb.1673:
	v_readfirstlane_b32 s0, v37
	s_waitcnt vmcnt(0)
	v_mov_b64_e32 v[2:3], 0
	v_cmp_eq_u32_e64 s[0:1], s0, v37
	s_and_saveexec_b64 s[2:3], s[0:1]
	s_cbranch_execz .LBB3_1679
; %bb.1674:
	v_mov_b32_e32 v4, 0
	global_load_dwordx2 v[8:9], v4, s[26:27] offset:24 sc0 sc1
	s_waitcnt vmcnt(0)
	buffer_inv sc0 sc1
	global_load_dwordx2 v[2:3], v4, s[26:27] offset:40
	global_load_dwordx2 v[6:7], v4, s[26:27]
	s_waitcnt vmcnt(1)
	v_and_b32_e32 v2, v2, v8
	v_and_b32_e32 v3, v3, v9
	v_mul_lo_u32 v3, v3, 24
	v_mul_hi_u32 v5, v2, 24
	v_add_u32_e32 v3, v5, v3
	v_mul_lo_u32 v2, v2, 24
	s_waitcnt vmcnt(0)
	v_lshl_add_u64 v[2:3], v[6:7], 0, v[2:3]
	global_load_dwordx2 v[6:7], v[2:3], off sc0 sc1
	s_waitcnt vmcnt(0)
	global_atomic_cmpswap_x2 v[2:3], v4, v[6:9], s[26:27] offset:24 sc0 sc1
	s_waitcnt vmcnt(0)
	buffer_inv sc0 sc1
	v_cmp_ne_u64_e32 vcc, v[2:3], v[8:9]
	s_and_saveexec_b64 s[4:5], vcc
	s_cbranch_execz .LBB3_1678
; %bb.1675:
	s_mov_b64 s[6:7], 0
.LBB3_1676:                             ; =>This Inner Loop Header: Depth=1
	s_sleep 1
	global_load_dwordx2 v[6:7], v4, s[26:27] offset:40
	global_load_dwordx2 v[10:11], v4, s[26:27]
	v_mov_b64_e32 v[8:9], v[2:3]
	s_waitcnt vmcnt(1)
	v_and_b32_e32 v2, v6, v8
	s_waitcnt vmcnt(0)
	v_mad_u64_u32 v[2:3], s[10:11], v2, 24, v[10:11]
	v_and_b32_e32 v5, v7, v9
	v_mov_b32_e32 v6, v3
	v_mad_u64_u32 v[6:7], s[10:11], v5, 24, v[6:7]
	v_mov_b32_e32 v3, v6
	global_load_dwordx2 v[6:7], v[2:3], off sc0 sc1
	s_waitcnt vmcnt(0)
	global_atomic_cmpswap_x2 v[2:3], v4, v[6:9], s[26:27] offset:24 sc0 sc1
	s_waitcnt vmcnt(0)
	buffer_inv sc0 sc1
	v_cmp_eq_u64_e32 vcc, v[2:3], v[8:9]
	s_or_b64 s[6:7], vcc, s[6:7]
	s_andn2_b64 exec, exec, s[6:7]
	s_cbranch_execnz .LBB3_1676
; %bb.1677:
	s_or_b64 exec, exec, s[6:7]
.LBB3_1678:
	s_or_b64 exec, exec, s[4:5]
.LBB3_1679:
	s_or_b64 exec, exec, s[2:3]
	v_mov_b32_e32 v49, 0
	global_load_dwordx2 v[8:9], v49, s[26:27] offset:40
	global_load_dwordx4 v[4:7], v49, s[26:27]
	v_readfirstlane_b32 s2, v2
	v_readfirstlane_b32 s3, v3
	s_mov_b64 s[4:5], exec
	s_waitcnt vmcnt(1)
	v_readfirstlane_b32 s6, v8
	v_readfirstlane_b32 s7, v9
	s_and_b64 s[6:7], s[2:3], s[6:7]
	s_mul_i32 s10, s7, 24
	s_mul_hi_u32 s11, s6, 24
	s_add_i32 s11, s11, s10
	s_mul_i32 s10, s6, 24
	s_waitcnt vmcnt(0)
	v_lshl_add_u64 v[8:9], v[4:5], 0, s[10:11]
	s_and_saveexec_b64 s[10:11], s[0:1]
	s_cbranch_execz .LBB3_1681
; %bb.1680:
	v_mov_b64_e32 v[10:11], s[4:5]
	v_mov_b32_e32 v12, 2
	v_mov_b32_e32 v13, 1
	global_store_dwordx4 v[8:9], v[10:13], off offset:8
.LBB3_1681:
	s_or_b64 exec, exec, s[10:11]
	s_lshl_b64 s[4:5], s[6:7], 12
	v_lshl_add_u64 v[6:7], v[6:7], 0, s[4:5]
	s_movk_i32 s4, 0xff1f
	v_and_or_b32 v0, v0, s4, 32
	s_mov_b32 s4, 0
	v_mov_b32_e32 v2, v49
	v_mov_b32_e32 v3, v49
	v_readfirstlane_b32 s10, v6
	v_readfirstlane_b32 s11, v7
	s_mov_b32 s5, s4
	s_mov_b32 s6, s4
	;; [unrolled: 1-line block ×3, first 2 shown]
	s_nop 1
	global_store_dwordx4 v48, v[0:3], s[10:11]
	s_nop 1
	v_mov_b64_e32 v[0:1], s[4:5]
	v_mov_b64_e32 v[2:3], s[6:7]
	global_store_dwordx4 v48, v[0:3], s[10:11] offset:16
	global_store_dwordx4 v48, v[0:3], s[10:11] offset:32
	;; [unrolled: 1-line block ×3, first 2 shown]
	s_and_saveexec_b64 s[4:5], s[0:1]
	s_cbranch_execz .LBB3_1689
; %bb.1682:
	v_mov_b32_e32 v10, 0
	global_load_dwordx2 v[14:15], v10, s[26:27] offset:32 sc0 sc1
	global_load_dwordx2 v[0:1], v10, s[26:27] offset:40
	v_mov_b32_e32 v12, s2
	v_mov_b32_e32 v13, s3
	s_waitcnt vmcnt(0)
	v_readfirstlane_b32 s6, v0
	v_readfirstlane_b32 s7, v1
	s_and_b64 s[6:7], s[6:7], s[2:3]
	s_mul_i32 s7, s7, 24
	s_mul_hi_u32 s10, s6, 24
	s_mul_i32 s6, s6, 24
	s_add_i32 s7, s10, s7
	v_lshl_add_u64 v[4:5], v[4:5], 0, s[6:7]
	global_store_dwordx2 v[4:5], v[14:15], off
	buffer_wbl2 sc0 sc1
	s_waitcnt vmcnt(0)
	global_atomic_cmpswap_x2 v[2:3], v10, v[12:15], s[26:27] offset:32 sc0 sc1
	s_waitcnt vmcnt(0)
	v_cmp_ne_u64_e32 vcc, v[2:3], v[14:15]
	s_and_saveexec_b64 s[6:7], vcc
	s_cbranch_execz .LBB3_1685
; %bb.1683:
	s_mov_b64 s[10:11], 0
.LBB3_1684:                             ; =>This Inner Loop Header: Depth=1
	s_sleep 1
	global_store_dwordx2 v[4:5], v[2:3], off
	v_mov_b32_e32 v0, s2
	v_mov_b32_e32 v1, s3
	buffer_wbl2 sc0 sc1
	s_waitcnt vmcnt(0)
	global_atomic_cmpswap_x2 v[0:1], v10, v[0:3], s[26:27] offset:32 sc0 sc1
	s_waitcnt vmcnt(0)
	v_cmp_eq_u64_e32 vcc, v[0:1], v[2:3]
	s_or_b64 s[10:11], vcc, s[10:11]
	v_mov_b64_e32 v[2:3], v[0:1]
	s_andn2_b64 exec, exec, s[10:11]
	s_cbranch_execnz .LBB3_1684
.LBB3_1685:
	s_or_b64 exec, exec, s[6:7]
	v_mov_b32_e32 v3, 0
	global_load_dwordx2 v[0:1], v3, s[26:27] offset:16
	s_mov_b64 s[6:7], exec
	v_mbcnt_lo_u32_b32 v2, s6, 0
	v_mbcnt_hi_u32_b32 v2, s7, v2
	v_cmp_eq_u32_e32 vcc, 0, v2
	s_and_saveexec_b64 s[10:11], vcc
	s_cbranch_execz .LBB3_1687
; %bb.1686:
	s_bcnt1_i32_b64 s6, s[6:7]
	v_mov_b32_e32 v2, s6
	buffer_wbl2 sc0 sc1
	s_waitcnt vmcnt(0)
	global_atomic_add_x2 v[0:1], v[2:3], off offset:8 sc1
.LBB3_1687:
	s_or_b64 exec, exec, s[10:11]
	s_waitcnt vmcnt(0)
	global_load_dwordx2 v[2:3], v[0:1], off offset:16
	s_waitcnt vmcnt(0)
	v_cmp_eq_u64_e32 vcc, 0, v[2:3]
	s_cbranch_vccnz .LBB3_1689
; %bb.1688:
	global_load_dword v0, v[0:1], off offset:24
	v_mov_b32_e32 v1, 0
	buffer_wbl2 sc0 sc1
	s_waitcnt vmcnt(0)
	global_store_dwordx2 v[2:3], v[0:1], off sc0 sc1
	v_and_b32_e32 v0, 0xffffff, v0
	s_nop 0
	v_readfirstlane_b32 m0, v0
	s_sendmsg sendmsg(MSG_INTERRUPT)
.LBB3_1689:
	s_or_b64 exec, exec, s[4:5]
	v_lshl_add_u64 v[0:1], v[6:7], 0, v[48:49]
	s_branch .LBB3_1693
.LBB3_1690:                             ;   in Loop: Header=BB3_1693 Depth=1
	s_or_b64 exec, exec, s[4:5]
	v_readfirstlane_b32 s4, v2
	s_cmp_eq_u32 s4, 0
	s_cbranch_scc1 .LBB3_1692
; %bb.1691:                             ;   in Loop: Header=BB3_1693 Depth=1
	s_sleep 1
	s_cbranch_execnz .LBB3_1693
	s_branch .LBB3_1695
.LBB3_1692:
	s_branch .LBB3_1695
.LBB3_1693:                             ; =>This Inner Loop Header: Depth=1
	v_mov_b32_e32 v2, 1
	s_and_saveexec_b64 s[4:5], s[0:1]
	s_cbranch_execz .LBB3_1690
; %bb.1694:                             ;   in Loop: Header=BB3_1693 Depth=1
	global_load_dword v2, v[8:9], off offset:20 sc0 sc1
	s_waitcnt vmcnt(0)
	buffer_inv sc0 sc1
	v_and_b32_e32 v2, 1, v2
	s_branch .LBB3_1690
.LBB3_1695:
	global_load_dwordx2 v[2:3], v[0:1], off
	s_and_saveexec_b64 s[4:5], s[0:1]
	s_cbranch_execz .LBB3_1698
; %bb.1696:
	v_mov_b32_e32 v8, 0
	global_load_dwordx2 v[0:1], v8, s[26:27] offset:40
	global_load_dwordx2 v[10:11], v8, s[26:27] offset:24 sc0 sc1
	global_load_dwordx2 v[12:13], v8, s[26:27]
	s_mov_b64 s[0:1], 0
	s_waitcnt vmcnt(2)
	v_lshl_add_u64 v[4:5], v[0:1], 0, 1
	v_lshl_add_u64 v[14:15], v[4:5], 0, s[2:3]
	v_cmp_eq_u64_e32 vcc, 0, v[14:15]
	s_waitcnt vmcnt(1)
	v_mov_b32_e32 v6, v10
	v_cndmask_b32_e32 v5, v15, v5, vcc
	v_cndmask_b32_e32 v4, v14, v4, vcc
	v_and_b32_e32 v1, v5, v1
	v_and_b32_e32 v0, v4, v0
	v_mul_lo_u32 v1, v1, 24
	v_mul_hi_u32 v7, v0, 24
	v_mul_lo_u32 v0, v0, 24
	v_add_u32_e32 v1, v7, v1
	s_waitcnt vmcnt(0)
	v_lshl_add_u64 v[0:1], v[12:13], 0, v[0:1]
	global_store_dwordx2 v[0:1], v[10:11], off
	v_mov_b32_e32 v7, v11
	buffer_wbl2 sc0 sc1
	s_waitcnt vmcnt(0)
	global_atomic_cmpswap_x2 v[6:7], v8, v[4:7], s[26:27] offset:24 sc0 sc1
	s_waitcnt vmcnt(0)
	v_cmp_ne_u64_e32 vcc, v[6:7], v[10:11]
	s_and_b64 exec, exec, vcc
	s_cbranch_execz .LBB3_1698
.LBB3_1697:                             ; =>This Inner Loop Header: Depth=1
	s_sleep 1
	global_store_dwordx2 v[0:1], v[6:7], off
	buffer_wbl2 sc0 sc1
	s_waitcnt vmcnt(0)
	global_atomic_cmpswap_x2 v[10:11], v8, v[4:7], s[26:27] offset:24 sc0 sc1
	s_waitcnt vmcnt(0)
	v_cmp_eq_u64_e32 vcc, v[10:11], v[6:7]
	s_or_b64 s[0:1], vcc, s[0:1]
	v_mov_b64_e32 v[6:7], v[10:11]
	s_andn2_b64 exec, exec, s[0:1]
	s_cbranch_execnz .LBB3_1697
.LBB3_1698:
	s_or_b64 exec, exec, s[4:5]
.LBB3_1699:
	v_readfirstlane_b32 s0, v37
	s_waitcnt vmcnt(0)
	v_mov_b64_e32 v[0:1], 0
	v_cmp_eq_u32_e64 s[0:1], s0, v37
	s_and_saveexec_b64 s[2:3], s[0:1]
	s_cbranch_execz .LBB3_1705
; %bb.1700:
	v_mov_b32_e32 v4, 0
	global_load_dwordx2 v[8:9], v4, s[26:27] offset:24 sc0 sc1
	s_waitcnt vmcnt(0)
	buffer_inv sc0 sc1
	global_load_dwordx2 v[0:1], v4, s[26:27] offset:40
	global_load_dwordx2 v[6:7], v4, s[26:27]
	s_waitcnt vmcnt(1)
	v_and_b32_e32 v0, v0, v8
	v_and_b32_e32 v1, v1, v9
	v_mul_lo_u32 v1, v1, 24
	v_mul_hi_u32 v5, v0, 24
	v_add_u32_e32 v1, v5, v1
	v_mul_lo_u32 v0, v0, 24
	s_waitcnt vmcnt(0)
	v_lshl_add_u64 v[0:1], v[6:7], 0, v[0:1]
	global_load_dwordx2 v[6:7], v[0:1], off sc0 sc1
	s_waitcnt vmcnt(0)
	global_atomic_cmpswap_x2 v[0:1], v4, v[6:9], s[26:27] offset:24 sc0 sc1
	s_waitcnt vmcnt(0)
	buffer_inv sc0 sc1
	v_cmp_ne_u64_e32 vcc, v[0:1], v[8:9]
	s_and_saveexec_b64 s[4:5], vcc
	s_cbranch_execz .LBB3_1704
; %bb.1701:
	s_mov_b64 s[6:7], 0
.LBB3_1702:                             ; =>This Inner Loop Header: Depth=1
	s_sleep 1
	global_load_dwordx2 v[6:7], v4, s[26:27] offset:40
	global_load_dwordx2 v[10:11], v4, s[26:27]
	v_mov_b64_e32 v[8:9], v[0:1]
	s_waitcnt vmcnt(1)
	v_and_b32_e32 v0, v6, v8
	s_waitcnt vmcnt(0)
	v_mad_u64_u32 v[0:1], s[10:11], v0, 24, v[10:11]
	v_and_b32_e32 v5, v7, v9
	v_mov_b32_e32 v6, v1
	v_mad_u64_u32 v[6:7], s[10:11], v5, 24, v[6:7]
	v_mov_b32_e32 v1, v6
	global_load_dwordx2 v[6:7], v[0:1], off sc0 sc1
	s_waitcnt vmcnt(0)
	global_atomic_cmpswap_x2 v[0:1], v4, v[6:9], s[26:27] offset:24 sc0 sc1
	s_waitcnt vmcnt(0)
	buffer_inv sc0 sc1
	v_cmp_eq_u64_e32 vcc, v[0:1], v[8:9]
	s_or_b64 s[6:7], vcc, s[6:7]
	s_andn2_b64 exec, exec, s[6:7]
	s_cbranch_execnz .LBB3_1702
; %bb.1703:
	s_or_b64 exec, exec, s[6:7]
.LBB3_1704:
	s_or_b64 exec, exec, s[4:5]
.LBB3_1705:
	s_or_b64 exec, exec, s[2:3]
	v_mov_b32_e32 v5, 0
	global_load_dwordx2 v[10:11], v5, s[26:27] offset:40
	global_load_dwordx4 v[6:9], v5, s[26:27]
	v_readfirstlane_b32 s2, v0
	v_readfirstlane_b32 s3, v1
	s_mov_b64 s[4:5], exec
	s_waitcnt vmcnt(1)
	v_readfirstlane_b32 s6, v10
	v_readfirstlane_b32 s7, v11
	s_and_b64 s[6:7], s[2:3], s[6:7]
	s_mul_i32 s10, s7, 24
	s_mul_hi_u32 s11, s6, 24
	s_add_i32 s11, s11, s10
	s_mul_i32 s10, s6, 24
	s_waitcnt vmcnt(0)
	v_lshl_add_u64 v[10:11], v[6:7], 0, s[10:11]
	s_and_saveexec_b64 s[10:11], s[0:1]
	s_cbranch_execz .LBB3_1707
; %bb.1706:
	v_mov_b64_e32 v[12:13], s[4:5]
	v_mov_b32_e32 v14, 2
	v_mov_b32_e32 v15, 1
	global_store_dwordx4 v[10:11], v[12:15], off offset:8
.LBB3_1707:
	s_or_b64 exec, exec, s[10:11]
	s_lshl_b64 s[4:5], s[6:7], 12
	v_lshl_add_u64 v[0:1], v[8:9], 0, s[4:5]
	s_movk_i32 s4, 0xff1d
	v_and_or_b32 v2, v2, s4, 34
	s_mov_b32 s4, 0
	v_mov_b32_e32 v4, 10
	v_readfirstlane_b32 s10, v0
	v_readfirstlane_b32 s11, v1
	s_mov_b32 s5, s4
	s_mov_b32 s6, s4
	s_mov_b32 s7, s4
	s_nop 1
	global_store_dwordx4 v48, v[2:5], s[10:11]
	v_mov_b64_e32 v[0:1], s[4:5]
	s_nop 0
	v_mov_b64_e32 v[2:3], s[6:7]
	global_store_dwordx4 v48, v[0:3], s[10:11] offset:16
	global_store_dwordx4 v48, v[0:3], s[10:11] offset:32
	;; [unrolled: 1-line block ×3, first 2 shown]
	s_and_saveexec_b64 s[4:5], s[0:1]
	s_cbranch_execz .LBB3_1715
; %bb.1708:
	v_mov_b32_e32 v8, 0
	global_load_dwordx2 v[14:15], v8, s[26:27] offset:32 sc0 sc1
	global_load_dwordx2 v[0:1], v8, s[26:27] offset:40
	v_mov_b32_e32 v12, s2
	v_mov_b32_e32 v13, s3
	s_waitcnt vmcnt(0)
	v_readfirstlane_b32 s6, v0
	v_readfirstlane_b32 s7, v1
	s_and_b64 s[6:7], s[6:7], s[2:3]
	s_mul_i32 s7, s7, 24
	s_mul_hi_u32 s10, s6, 24
	s_mul_i32 s6, s6, 24
	s_add_i32 s7, s10, s7
	v_lshl_add_u64 v[4:5], v[6:7], 0, s[6:7]
	global_store_dwordx2 v[4:5], v[14:15], off
	buffer_wbl2 sc0 sc1
	s_waitcnt vmcnt(0)
	global_atomic_cmpswap_x2 v[2:3], v8, v[12:15], s[26:27] offset:32 sc0 sc1
	s_waitcnt vmcnt(0)
	v_cmp_ne_u64_e32 vcc, v[2:3], v[14:15]
	s_and_saveexec_b64 s[6:7], vcc
	s_cbranch_execz .LBB3_1711
; %bb.1709:
	s_mov_b64 s[10:11], 0
.LBB3_1710:                             ; =>This Inner Loop Header: Depth=1
	s_sleep 1
	global_store_dwordx2 v[4:5], v[2:3], off
	v_mov_b32_e32 v0, s2
	v_mov_b32_e32 v1, s3
	buffer_wbl2 sc0 sc1
	s_waitcnt vmcnt(0)
	global_atomic_cmpswap_x2 v[0:1], v8, v[0:3], s[26:27] offset:32 sc0 sc1
	s_waitcnt vmcnt(0)
	v_cmp_eq_u64_e32 vcc, v[0:1], v[2:3]
	s_or_b64 s[10:11], vcc, s[10:11]
	v_mov_b64_e32 v[2:3], v[0:1]
	s_andn2_b64 exec, exec, s[10:11]
	s_cbranch_execnz .LBB3_1710
.LBB3_1711:
	s_or_b64 exec, exec, s[6:7]
	v_mov_b32_e32 v3, 0
	global_load_dwordx2 v[0:1], v3, s[26:27] offset:16
	s_mov_b64 s[6:7], exec
	v_mbcnt_lo_u32_b32 v2, s6, 0
	v_mbcnt_hi_u32_b32 v2, s7, v2
	v_cmp_eq_u32_e32 vcc, 0, v2
	s_and_saveexec_b64 s[10:11], vcc
	s_cbranch_execz .LBB3_1713
; %bb.1712:
	s_bcnt1_i32_b64 s6, s[6:7]
	v_mov_b32_e32 v2, s6
	buffer_wbl2 sc0 sc1
	s_waitcnt vmcnt(0)
	global_atomic_add_x2 v[0:1], v[2:3], off offset:8 sc1
.LBB3_1713:
	s_or_b64 exec, exec, s[10:11]
	s_waitcnt vmcnt(0)
	global_load_dwordx2 v[2:3], v[0:1], off offset:16
	s_waitcnt vmcnt(0)
	v_cmp_eq_u64_e32 vcc, 0, v[2:3]
	s_cbranch_vccnz .LBB3_1715
; %bb.1714:
	global_load_dword v0, v[0:1], off offset:24
	v_mov_b32_e32 v1, 0
	buffer_wbl2 sc0 sc1
	s_waitcnt vmcnt(0)
	global_store_dwordx2 v[2:3], v[0:1], off sc0 sc1
	v_and_b32_e32 v0, 0xffffff, v0
	s_nop 0
	v_readfirstlane_b32 m0, v0
	s_sendmsg sendmsg(MSG_INTERRUPT)
.LBB3_1715:
	s_or_b64 exec, exec, s[4:5]
	s_branch .LBB3_1719
.LBB3_1716:                             ;   in Loop: Header=BB3_1719 Depth=1
	s_or_b64 exec, exec, s[4:5]
	v_readfirstlane_b32 s4, v0
	s_cmp_eq_u32 s4, 0
	s_cbranch_scc1 .LBB3_1718
; %bb.1717:                             ;   in Loop: Header=BB3_1719 Depth=1
	s_sleep 1
	s_cbranch_execnz .LBB3_1719
	s_branch .LBB3_1721
.LBB3_1718:
	s_branch .LBB3_1721
.LBB3_1719:                             ; =>This Inner Loop Header: Depth=1
	v_mov_b32_e32 v0, 1
	s_and_saveexec_b64 s[4:5], s[0:1]
	s_cbranch_execz .LBB3_1716
; %bb.1720:                             ;   in Loop: Header=BB3_1719 Depth=1
	global_load_dword v0, v[10:11], off offset:20 sc0 sc1
	s_waitcnt vmcnt(0)
	buffer_inv sc0 sc1
	v_and_b32_e32 v0, 1, v0
	s_branch .LBB3_1716
.LBB3_1721:
	s_and_saveexec_b64 s[4:5], s[0:1]
	s_cbranch_execz .LBB3_1724
; %bb.1722:
	v_mov_b32_e32 v6, 0
	global_load_dwordx2 v[4:5], v6, s[26:27] offset:40
	global_load_dwordx2 v[8:9], v6, s[26:27] offset:24 sc0 sc1
	global_load_dwordx2 v[10:11], v6, s[26:27]
	s_mov_b64 s[0:1], 0
	s_waitcnt vmcnt(2)
	v_lshl_add_u64 v[0:1], v[4:5], 0, 1
	v_lshl_add_u64 v[12:13], v[0:1], 0, s[2:3]
	v_cmp_eq_u64_e32 vcc, 0, v[12:13]
	s_waitcnt vmcnt(1)
	v_mov_b32_e32 v2, v8
	v_cndmask_b32_e32 v1, v13, v1, vcc
	v_cndmask_b32_e32 v0, v12, v0, vcc
	v_and_b32_e32 v3, v1, v5
	v_and_b32_e32 v4, v0, v4
	v_mul_lo_u32 v3, v3, 24
	v_mul_hi_u32 v5, v4, 24
	v_mul_lo_u32 v4, v4, 24
	v_add_u32_e32 v5, v5, v3
	s_waitcnt vmcnt(0)
	v_lshl_add_u64 v[4:5], v[10:11], 0, v[4:5]
	global_store_dwordx2 v[4:5], v[8:9], off
	v_mov_b32_e32 v3, v9
	buffer_wbl2 sc0 sc1
	s_waitcnt vmcnt(0)
	global_atomic_cmpswap_x2 v[2:3], v6, v[0:3], s[26:27] offset:24 sc0 sc1
	s_waitcnt vmcnt(0)
	v_cmp_ne_u64_e32 vcc, v[2:3], v[8:9]
	s_and_b64 exec, exec, vcc
	s_cbranch_execz .LBB3_1724
.LBB3_1723:                             ; =>This Inner Loop Header: Depth=1
	s_sleep 1
	global_store_dwordx2 v[4:5], v[2:3], off
	buffer_wbl2 sc0 sc1
	s_waitcnt vmcnt(0)
	global_atomic_cmpswap_x2 v[8:9], v6, v[0:3], s[26:27] offset:24 sc0 sc1
	s_waitcnt vmcnt(0)
	v_cmp_eq_u64_e32 vcc, v[8:9], v[2:3]
	s_or_b64 s[0:1], vcc, s[0:1]
	v_mov_b64_e32 v[2:3], v[8:9]
	s_andn2_b64 exec, exec, s[0:1]
	s_cbranch_execnz .LBB3_1723
.LBB3_1724:
	s_or_b64 exec, exec, s[4:5]
	flat_load_dwordx2 v[0:1], v[38:39]
	s_waitcnt vmcnt(0) lgkmcnt(0)
	flat_load_dword v2, v[0:1]
	s_waitcnt vmcnt(0) lgkmcnt(0)
	v_add_u32_e32 v2, 1, v2
	flat_store_dword v[0:1], v2
.LBB3_1725:
	s_or_b64 exec, exec, s[24:25]
	s_getpc_b64 s[0:1]
	s_add_u32 s0, s0, _ZN8migraphx4test4failEv@rel32@lo+4
	s_addc_u32 s1, s1, _ZN8migraphx4test4failEv@rel32@hi+12
	s_swappc_b64 s[30:31], s[0:1]
	; divergent unreachable
.LBB3_1726:
	s_andn2_saveexec_b64 s[0:1], s[22:23]
	s_or_b64 exec, exec, s[0:1]
	v_readlane_b32 s30, v40, 0
	v_readlane_b32 s31, v40, 1
	;; [unrolled: 1-line block ×3, first 2 shown]
	s_or_saveexec_b64 s[2:3], -1
	scratch_load_dword v40, off, s33 offset:24 ; 4-byte Folded Reload
	s_mov_b64 exec, s[2:3]
	s_addk_i32 s32, 0xffe0
	s_mov_b32 s33, s0
	s_waitcnt vmcnt(0)
	s_setpc_b64 s[30:31]
.Lfunc_end3:
	.size	_ZL22equal_custom_predicateRN8migraphx4test12test_managerE, .Lfunc_end3-_ZL22equal_custom_predicateRN8migraphx4test12test_managerE
                                        ; -- End function
	.section	.AMDGPU.csdata,"",@progbits
; Function info:
; codeLenInByte = 59008
; NumSgprs: 46
; NumVgprs: 50
; NumAgprs: 0
; TotalNumVgprs: 50
; ScratchSize: 32
; MemoryBound: 0
	.text
	.protected	gpu_test_kernel         ; -- Begin function gpu_test_kernel
	.globl	gpu_test_kernel
	.p2align	8
	.type	gpu_test_kernel,@function
gpu_test_kernel:                        ; @gpu_test_kernel
; %bb.0:
	s_load_dwordx2 s[8:9], s[0:1], 0x4
	s_load_dwordx2 s[10:11], s[2:3], 0x8
	s_load_dword s42, s[2:3], 0x0
	v_and_b32_e32 v42, 0x3ff, v0
	v_bfe_u32 v2, v0, 10, 10
	s_waitcnt lgkmcnt(0)
	s_lshr_b32 s0, s8, 16
	s_mul_i32 s0, s0, s9
	v_mul_lo_u32 v1, s0, v42
	v_mul_u32_u24_e32 v2, s9, v2
	v_bfe_u32 v3, v0, 20, 10
	v_add3_u32 v43, v1, v2, v3
	v_lshlrev_b32_e32 v41, 3, v43
	v_mov_b64_e32 v[2:3], s[10:11]
	s_cmp_lt_i32 s42, 2
	s_mov_b64 s[0:1], -1
	s_mov_b32 s32, 32
	ds_write_b64 v41, v[2:3]
	s_cbranch_scc1 .LBB4_4
; %bb.1:
	s_cmp_eq_u32 s42, 2
	s_cbranch_scc0 .LBB4_3
; %bb.2:
	s_mov_b64 s[0:1], src_shared_base
	s_add_u32 s8, s2, 16
	s_addc_u32 s9, s3, 0
	s_mov_b32 s12, s4
	s_mov_b32 s13, s5
	;; [unrolled: 1-line block ×3, first 2 shown]
	v_mov_b32_e32 v31, v0
	v_mov_b32_e32 v0, v41
	;; [unrolled: 1-line block ×3, first 2 shown]
	s_getpc_b64 s[10:11]
	s_add_u32 s10, s10, _ZL22equal_custom_predicateRN8migraphx4test12test_managerE@rel32@lo+4
	s_addc_u32 s11, s11, _ZL22equal_custom_predicateRN8migraphx4test12test_managerE@rel32@hi+12
	s_mov_b64 s[40:41], s[2:3]
	s_mov_b32 s44, s6
	s_mov_b32 s43, s5
	;; [unrolled: 1-line block ×3, first 2 shown]
	s_swappc_b64 s[30:31], s[10:11]
	s_mov_b32 s4, s45
	s_mov_b32 s5, s43
	;; [unrolled: 1-line block ×3, first 2 shown]
	s_mov_b64 s[2:3], s[40:41]
.LBB4_3:
	s_mov_b64 s[0:1], 0
.LBB4_4:
	s_andn2_b64 vcc, exec, s[0:1]
	s_cbranch_vccnz .LBB4_6
; %bb.5:
	s_cmp_lg_u32 s42, 0
	s_mov_b32 s7, 0
	s_cbranch_scc0 .LBB4_7
.LBB4_6:
	s_endpgm
.LBB4_7:
	v_lshlrev_b32_e32 v1, 4, v43
	v_add_u32_e32 v0, 0x2000, v1
	v_add_u32_e32 v1, 0x2008, v1
	v_mov_b32_e32 v4, 3
	v_mov_b32_e32 v5, 4
	;; [unrolled: 1-line block ×4, first 2 shown]
	ds_write2_b32 v1, v4, v5 offset1:1
	v_mov_b32_e32 v5, 5
	s_mov_b64 s[12:13], 0
	ds_write2_b32 v0, v2, v3 offset1:1
	scratch_store_dwordx4 off, v[2:5], off
                                        ; implicit-def: $sgpr10_sgpr11
                                        ; implicit-def: $sgpr8_sgpr9
.LBB4_8:                                ; =>This Inner Loop Header: Depth=1
	s_add_i32 s0, s7, 0
	scratch_load_dword v1, off, s0
	v_add_u32_e32 v2, s7, v0
	ds_read_b32 v2, v2
	s_add_i32 s0, s7, 4
	s_cmp_eq_u32 s7, 12
	s_mov_b32 s7, s0
	s_cselect_b64 s[14:15], -1, 0
	s_waitcnt vmcnt(0) lgkmcnt(0)
	v_cmp_ne_u32_e64 s[0:1], v2, v1
	s_or_b64 s[14:15], s[0:1], s[14:15]
	s_and_b64 s[14:15], exec, s[14:15]
	v_cmp_eq_u32_e32 vcc, v2, v1
	s_or_b64 s[12:13], s[14:15], s[12:13]
	s_andn2_b64 s[8:9], s[8:9], exec
	s_and_b64 s[14:15], vcc, exec
	s_andn2_b64 s[10:11], s[10:11], exec
	s_and_b64 s[0:1], s[0:1], exec
	s_or_b64 s[8:9], s[8:9], s[14:15]
	s_or_b64 s[10:11], s[10:11], s[0:1]
	s_andn2_b64 exec, exec, s[12:13]
	s_cbranch_execnz .LBB4_8
; %bb.9:
	s_or_b64 exec, exec, s[12:13]
	s_and_saveexec_b64 s[0:1], s[10:11]
	s_xor_b64 s[0:1], exec, s[0:1]
; %bb.10:
                                        ; implicit-def: $vgpr42
                                        ; implicit-def: $vgpr41
; %bb.11:
	s_andn2_saveexec_b64 s[0:1], s[0:1]
	s_cbranch_execz .LBB4_6
; %bb.12:
	v_cmp_eq_u32_e32 vcc, 0, v42
	s_and_saveexec_b64 s[22:23], vcc
	s_cbranch_execz .LBB4_1734
; %bb.13:
	s_load_dwordx2 s[24:25], s[2:3], 0x60
	v_mbcnt_lo_u32_b32 v0, -1, 0
	v_mbcnt_hi_u32_b32 v37, -1, v0
	v_mov_b64_e32 v[4:5], 0
	v_readfirstlane_b32 s0, v37
	s_nop 1
	v_cmp_eq_u32_e64 s[0:1], s0, v37
	s_and_saveexec_b64 s[10:11], s[0:1]
	s_cbranch_execz .LBB4_19
; %bb.14:
	v_mov_b32_e32 v0, 0
	s_waitcnt lgkmcnt(0)
	global_load_dwordx2 v[6:7], v0, s[24:25] offset:24 sc0 sc1
	s_waitcnt vmcnt(0)
	buffer_inv sc0 sc1
	global_load_dwordx2 v[2:3], v0, s[24:25] offset:40
	global_load_dwordx2 v[4:5], v0, s[24:25]
	s_waitcnt vmcnt(1)
	v_and_b32_e32 v1, v2, v6
	v_and_b32_e32 v2, v3, v7
	v_mul_lo_u32 v2, v2, 24
	v_mul_hi_u32 v3, v1, 24
	v_add_u32_e32 v3, v3, v2
	v_mul_lo_u32 v2, v1, 24
	s_waitcnt vmcnt(0)
	v_lshl_add_u64 v[2:3], v[4:5], 0, v[2:3]
	global_load_dwordx2 v[4:5], v[2:3], off sc0 sc1
	s_waitcnt vmcnt(0)
	global_atomic_cmpswap_x2 v[4:5], v0, v[4:7], s[24:25] offset:24 sc0 sc1
	s_waitcnt vmcnt(0)
	buffer_inv sc0 sc1
	v_cmp_ne_u64_e32 vcc, v[4:5], v[6:7]
	s_and_saveexec_b64 s[12:13], vcc
	s_cbranch_execz .LBB4_18
; %bb.15:
	s_mov_b64 s[14:15], 0
.LBB4_16:                               ; =>This Inner Loop Header: Depth=1
	s_sleep 1
	global_load_dwordx2 v[2:3], v0, s[24:25] offset:40
	global_load_dwordx2 v[8:9], v0, s[24:25]
	v_mov_b64_e32 v[6:7], v[4:5]
	s_waitcnt vmcnt(1)
	v_and_b32_e32 v2, v2, v6
	v_and_b32_e32 v1, v3, v7
	s_waitcnt vmcnt(0)
	v_mad_u64_u32 v[2:3], s[16:17], v2, 24, v[8:9]
	v_mov_b32_e32 v4, v3
	v_mad_u64_u32 v[4:5], s[16:17], v1, 24, v[4:5]
	v_mov_b32_e32 v3, v4
	global_load_dwordx2 v[4:5], v[2:3], off sc0 sc1
	s_waitcnt vmcnt(0)
	global_atomic_cmpswap_x2 v[4:5], v0, v[4:7], s[24:25] offset:24 sc0 sc1
	s_waitcnt vmcnt(0)
	buffer_inv sc0 sc1
	v_cmp_eq_u64_e32 vcc, v[4:5], v[6:7]
	s_or_b64 s[14:15], vcc, s[14:15]
	s_andn2_b64 exec, exec, s[14:15]
	s_cbranch_execnz .LBB4_16
; %bb.17:
	s_or_b64 exec, exec, s[14:15]
.LBB4_18:
	s_or_b64 exec, exec, s[12:13]
.LBB4_19:
	s_or_b64 exec, exec, s[10:11]
	v_mov_b32_e32 v39, 0
	s_waitcnt lgkmcnt(0)
	global_load_dwordx2 v[6:7], v39, s[24:25] offset:40
	global_load_dwordx4 v[0:3], v39, s[24:25]
	v_readfirstlane_b32 s10, v4
	v_readfirstlane_b32 s11, v5
	s_mov_b64 s[12:13], exec
	s_waitcnt vmcnt(1)
	v_readfirstlane_b32 s14, v6
	v_readfirstlane_b32 s15, v7
	s_and_b64 s[14:15], s[10:11], s[14:15]
	s_mul_i32 s7, s15, 24
	s_mul_hi_u32 s16, s14, 24
	s_add_i32 s17, s16, s7
	s_mul_i32 s16, s14, 24
	s_waitcnt vmcnt(0)
	v_lshl_add_u64 v[4:5], v[0:1], 0, s[16:17]
	s_and_saveexec_b64 s[16:17], s[0:1]
	s_cbranch_execz .LBB4_21
; %bb.20:
	v_mov_b64_e32 v[6:7], s[12:13]
	v_mov_b32_e32 v8, 2
	v_mov_b32_e32 v9, 1
	global_store_dwordx4 v[4:5], v[6:9], off offset:8
.LBB4_21:
	s_or_b64 exec, exec, s[16:17]
	s_lshl_b64 s[12:13], s[14:15], 12
	v_lshl_add_u64 v[6:7], v[2:3], 0, s[12:13]
	s_mov_b32 s12, 0
	v_lshlrev_b32_e32 v38, 6, v37
	v_mov_b32_e32 v8, 33
	v_mov_b32_e32 v9, v39
	;; [unrolled: 1-line block ×4, first 2 shown]
	v_readfirstlane_b32 s16, v6
	v_readfirstlane_b32 s17, v7
	s_mov_b32 s13, s12
	s_mov_b32 s14, s12
	;; [unrolled: 1-line block ×3, first 2 shown]
	s_nop 1
	global_store_dwordx4 v38, v[8:11], s[16:17]
	s_nop 1
	v_mov_b64_e32 v[8:9], s[12:13]
	v_mov_b64_e32 v[10:11], s[14:15]
	global_store_dwordx4 v38, v[8:11], s[16:17] offset:16
	global_store_dwordx4 v38, v[8:11], s[16:17] offset:32
	global_store_dwordx4 v38, v[8:11], s[16:17] offset:48
	s_and_saveexec_b64 s[12:13], s[0:1]
	s_cbranch_execz .LBB4_29
; %bb.22:
	v_mov_b32_e32 v10, 0
	global_load_dwordx2 v[14:15], v10, s[24:25] offset:32 sc0 sc1
	global_load_dwordx2 v[2:3], v10, s[24:25] offset:40
	v_mov_b32_e32 v12, s10
	v_mov_b32_e32 v13, s11
	s_waitcnt vmcnt(0)
	v_and_b32_e32 v2, s10, v2
	v_and_b32_e32 v3, s11, v3
	v_mul_lo_u32 v3, v3, 24
	v_mul_hi_u32 v8, v2, 24
	v_mul_lo_u32 v2, v2, 24
	v_add_u32_e32 v3, v8, v3
	v_lshl_add_u64 v[8:9], v[0:1], 0, v[2:3]
	global_store_dwordx2 v[8:9], v[14:15], off
	buffer_wbl2 sc0 sc1
	s_waitcnt vmcnt(0)
	global_atomic_cmpswap_x2 v[2:3], v10, v[12:15], s[24:25] offset:32 sc0 sc1
	s_waitcnt vmcnt(0)
	v_cmp_ne_u64_e32 vcc, v[2:3], v[14:15]
	s_and_saveexec_b64 s[14:15], vcc
	s_cbranch_execz .LBB4_25
; %bb.23:
	s_mov_b64 s[16:17], 0
.LBB4_24:                               ; =>This Inner Loop Header: Depth=1
	s_sleep 1
	global_store_dwordx2 v[8:9], v[2:3], off
	v_mov_b32_e32 v0, s10
	v_mov_b32_e32 v1, s11
	buffer_wbl2 sc0 sc1
	s_waitcnt vmcnt(0)
	global_atomic_cmpswap_x2 v[0:1], v10, v[0:3], s[24:25] offset:32 sc0 sc1
	s_waitcnt vmcnt(0)
	v_cmp_eq_u64_e32 vcc, v[0:1], v[2:3]
	s_or_b64 s[16:17], vcc, s[16:17]
	v_mov_b64_e32 v[2:3], v[0:1]
	s_andn2_b64 exec, exec, s[16:17]
	s_cbranch_execnz .LBB4_24
.LBB4_25:
	s_or_b64 exec, exec, s[14:15]
	v_mov_b32_e32 v3, 0
	global_load_dwordx2 v[0:1], v3, s[24:25] offset:16
	s_mov_b64 s[14:15], exec
	v_mbcnt_lo_u32_b32 v2, s14, 0
	v_mbcnt_hi_u32_b32 v2, s15, v2
	v_cmp_eq_u32_e32 vcc, 0, v2
	s_and_saveexec_b64 s[16:17], vcc
	s_cbranch_execz .LBB4_27
; %bb.26:
	s_bcnt1_i32_b64 s7, s[14:15]
	v_mov_b32_e32 v2, s7
	buffer_wbl2 sc0 sc1
	s_waitcnt vmcnt(0)
	global_atomic_add_x2 v[0:1], v[2:3], off offset:8 sc1
.LBB4_27:
	s_or_b64 exec, exec, s[16:17]
	s_waitcnt vmcnt(0)
	global_load_dwordx2 v[2:3], v[0:1], off offset:16
	s_waitcnt vmcnt(0)
	v_cmp_eq_u64_e32 vcc, 0, v[2:3]
	s_cbranch_vccnz .LBB4_29
; %bb.28:
	global_load_dword v0, v[0:1], off offset:24
	v_mov_b32_e32 v1, 0
	buffer_wbl2 sc0 sc1
	s_waitcnt vmcnt(0)
	global_store_dwordx2 v[2:3], v[0:1], off sc0 sc1
	v_and_b32_e32 v0, 0xffffff, v0
	s_nop 0
	v_readfirstlane_b32 m0, v0
	s_sendmsg sendmsg(MSG_INTERRUPT)
.LBB4_29:
	s_or_b64 exec, exec, s[12:13]
	v_lshl_add_u64 v[0:1], v[6:7], 0, v[38:39]
	s_branch .LBB4_33
.LBB4_30:                               ;   in Loop: Header=BB4_33 Depth=1
	s_or_b64 exec, exec, s[12:13]
	v_readfirstlane_b32 s7, v2
	s_cmp_eq_u32 s7, 0
	s_cbranch_scc1 .LBB4_32
; %bb.31:                               ;   in Loop: Header=BB4_33 Depth=1
	s_sleep 1
	s_cbranch_execnz .LBB4_33
	s_branch .LBB4_35
.LBB4_32:
	s_branch .LBB4_35
.LBB4_33:                               ; =>This Inner Loop Header: Depth=1
	v_mov_b32_e32 v2, 1
	s_and_saveexec_b64 s[12:13], s[0:1]
	s_cbranch_execz .LBB4_30
; %bb.34:                               ;   in Loop: Header=BB4_33 Depth=1
	global_load_dword v2, v[4:5], off offset:20 sc0 sc1
	s_waitcnt vmcnt(0)
	buffer_inv sc0 sc1
	v_and_b32_e32 v2, 1, v2
	s_branch .LBB4_30
.LBB4_35:
	global_load_dwordx2 v[4:5], v[0:1], off
	s_and_saveexec_b64 s[12:13], s[0:1]
	s_cbranch_execz .LBB4_38
; %bb.36:
	v_mov_b32_e32 v8, 0
	global_load_dwordx2 v[6:7], v8, s[24:25] offset:40
	global_load_dwordx2 v[10:11], v8, s[24:25] offset:24 sc0 sc1
	global_load_dwordx2 v[12:13], v8, s[24:25]
	s_mov_b64 s[0:1], 0
	s_waitcnt vmcnt(2)
	v_lshl_add_u64 v[0:1], v[6:7], 0, 1
	v_lshl_add_u64 v[14:15], v[0:1], 0, s[10:11]
	v_cmp_eq_u64_e32 vcc, 0, v[14:15]
	s_waitcnt vmcnt(1)
	v_mov_b32_e32 v2, v10
	v_cndmask_b32_e32 v1, v15, v1, vcc
	v_cndmask_b32_e32 v0, v14, v0, vcc
	v_and_b32_e32 v3, v1, v7
	v_and_b32_e32 v6, v0, v6
	v_mul_lo_u32 v3, v3, 24
	v_mul_hi_u32 v7, v6, 24
	v_mul_lo_u32 v6, v6, 24
	v_add_u32_e32 v7, v7, v3
	s_waitcnt vmcnt(0)
	v_lshl_add_u64 v[6:7], v[12:13], 0, v[6:7]
	global_store_dwordx2 v[6:7], v[10:11], off
	v_mov_b32_e32 v3, v11
	buffer_wbl2 sc0 sc1
	s_waitcnt vmcnt(0)
	global_atomic_cmpswap_x2 v[2:3], v8, v[0:3], s[24:25] offset:24 sc0 sc1
	s_waitcnt vmcnt(0)
	v_cmp_ne_u64_e32 vcc, v[2:3], v[10:11]
	s_and_b64 exec, exec, vcc
	s_cbranch_execz .LBB4_38
.LBB4_37:                               ; =>This Inner Loop Header: Depth=1
	s_sleep 1
	global_store_dwordx2 v[6:7], v[2:3], off
	buffer_wbl2 sc0 sc1
	s_waitcnt vmcnt(0)
	global_atomic_cmpswap_x2 v[10:11], v8, v[0:3], s[24:25] offset:24 sc0 sc1
	s_waitcnt vmcnt(0)
	v_cmp_eq_u64_e32 vcc, v[10:11], v[2:3]
	s_or_b64 s[0:1], vcc, s[0:1]
	v_mov_b64_e32 v[2:3], v[10:11]
	s_andn2_b64 exec, exec, s[0:1]
	s_cbranch_execnz .LBB4_37
.LBB4_38:
	s_or_b64 exec, exec, s[12:13]
	s_getpc_b64 s[12:13]
	s_add_u32 s12, s12, .str.5@rel32@lo+4
	s_addc_u32 s13, s13, .str.5@rel32@hi+12
	s_cmp_lg_u64 s[12:13], 0
	s_cselect_b64 s[10:11], -1, 0
	s_and_b64 vcc, exec, s[10:11]
	s_cbranch_vccz .LBB4_123
; %bb.39:
	s_waitcnt vmcnt(0)
	v_and_b32_e32 v26, 2, v4
	v_mov_b32_e32 v29, 0
	v_and_b32_e32 v0, -3, v4
	v_mov_b32_e32 v1, v5
	s_mov_b64 s[14:15], 3
	v_mov_b32_e32 v8, 2
	v_mov_b32_e32 v9, 1
	s_branch .LBB4_41
.LBB4_40:                               ;   in Loop: Header=BB4_41 Depth=1
	s_or_b64 exec, exec, s[20:21]
	s_sub_u32 s14, s14, s16
	s_subb_u32 s15, s15, s17
	s_add_u32 s12, s12, s16
	s_addc_u32 s13, s13, s17
	s_cmp_lg_u64 s[14:15], 0
	s_cbranch_scc0 .LBB4_122
.LBB4_41:                               ; =>This Loop Header: Depth=1
                                        ;     Child Loop BB4_44 Depth 2
                                        ;     Child Loop BB4_51 Depth 2
	;; [unrolled: 1-line block ×11, first 2 shown]
	v_cmp_lt_u64_e64 s[0:1], s[14:15], 56
	s_and_b64 s[0:1], s[0:1], exec
	v_cmp_gt_u64_e64 s[0:1], s[14:15], 7
	s_cselect_b32 s17, s15, 0
	s_cselect_b32 s16, s14, 56
	s_and_b64 vcc, exec, s[0:1]
	s_cbranch_vccnz .LBB4_46
; %bb.42:                               ;   in Loop: Header=BB4_41 Depth=1
	s_mov_b64 s[0:1], 0
	s_cmp_eq_u64 s[14:15], 0
	s_waitcnt vmcnt(0)
	v_mov_b64_e32 v[2:3], 0
	s_cbranch_scc1 .LBB4_45
; %bb.43:                               ;   in Loop: Header=BB4_41 Depth=1
	s_lshl_b64 s[18:19], s[16:17], 3
	s_mov_b64 s[20:21], 0
	v_mov_b64_e32 v[2:3], 0
	s_mov_b64 s[26:27], s[12:13]
.LBB4_44:                               ;   Parent Loop BB4_41 Depth=1
                                        ; =>  This Inner Loop Header: Depth=2
	global_load_ubyte v6, v29, s[26:27]
	s_waitcnt vmcnt(0)
	v_and_b32_e32 v28, 0xffff, v6
	v_lshlrev_b64 v[6:7], s20, v[28:29]
	s_add_u32 s20, s20, 8
	s_addc_u32 s21, s21, 0
	s_add_u32 s26, s26, 1
	s_addc_u32 s27, s27, 0
	v_or_b32_e32 v2, v6, v2
	s_cmp_lg_u32 s18, s20
	v_or_b32_e32 v3, v7, v3
	s_cbranch_scc1 .LBB4_44
.LBB4_45:                               ;   in Loop: Header=BB4_41 Depth=1
	s_mov_b32 s7, 0
	s_andn2_b64 vcc, exec, s[0:1]
	s_mov_b64 s[0:1], s[12:13]
	s_cbranch_vccz .LBB4_47
	s_branch .LBB4_48
.LBB4_46:                               ;   in Loop: Header=BB4_41 Depth=1
                                        ; implicit-def: $vgpr2_vgpr3
                                        ; implicit-def: $sgpr7
	s_mov_b64 s[0:1], s[12:13]
.LBB4_47:                               ;   in Loop: Header=BB4_41 Depth=1
	global_load_dwordx2 v[2:3], v29, s[12:13]
	s_add_i32 s7, s16, -8
	s_add_u32 s0, s12, 8
	s_addc_u32 s1, s13, 0
.LBB4_48:                               ;   in Loop: Header=BB4_41 Depth=1
	s_cmp_gt_u32 s7, 7
	s_cbranch_scc1 .LBB4_52
; %bb.49:                               ;   in Loop: Header=BB4_41 Depth=1
	s_cmp_eq_u32 s7, 0
	s_cbranch_scc1 .LBB4_53
; %bb.50:                               ;   in Loop: Header=BB4_41 Depth=1
	s_mov_b64 s[18:19], 0
	v_mov_b64_e32 v[10:11], 0
	s_mov_b64 s[20:21], 0
.LBB4_51:                               ;   Parent Loop BB4_41 Depth=1
                                        ; =>  This Inner Loop Header: Depth=2
	s_add_u32 s26, s0, s20
	s_addc_u32 s27, s1, s21
	global_load_ubyte v6, v29, s[26:27]
	s_add_u32 s20, s20, 1
	s_addc_u32 s21, s21, 0
	s_waitcnt vmcnt(0)
	v_and_b32_e32 v28, 0xffff, v6
	v_lshlrev_b64 v[6:7], s18, v[28:29]
	s_add_u32 s18, s18, 8
	s_addc_u32 s19, s19, 0
	v_or_b32_e32 v10, v6, v10
	s_cmp_lg_u32 s7, s20
	v_or_b32_e32 v11, v7, v11
	s_cbranch_scc1 .LBB4_51
	s_branch .LBB4_54
.LBB4_52:                               ;   in Loop: Header=BB4_41 Depth=1
                                        ; implicit-def: $vgpr10_vgpr11
                                        ; implicit-def: $sgpr26
	s_branch .LBB4_55
.LBB4_53:                               ;   in Loop: Header=BB4_41 Depth=1
	v_mov_b64_e32 v[10:11], 0
.LBB4_54:                               ;   in Loop: Header=BB4_41 Depth=1
	s_mov_b32 s26, 0
	s_cbranch_execnz .LBB4_56
.LBB4_55:                               ;   in Loop: Header=BB4_41 Depth=1
	global_load_dwordx2 v[10:11], v29, s[0:1]
	s_add_i32 s26, s7, -8
	s_add_u32 s0, s0, 8
	s_addc_u32 s1, s1, 0
.LBB4_56:                               ;   in Loop: Header=BB4_41 Depth=1
	s_cmp_gt_u32 s26, 7
	s_cbranch_scc1 .LBB4_60
; %bb.57:                               ;   in Loop: Header=BB4_41 Depth=1
	s_cmp_eq_u32 s26, 0
	s_cbranch_scc1 .LBB4_61
; %bb.58:                               ;   in Loop: Header=BB4_41 Depth=1
	s_mov_b64 s[18:19], 0
	v_mov_b64_e32 v[12:13], 0
	s_mov_b64 s[20:21], 0
.LBB4_59:                               ;   Parent Loop BB4_41 Depth=1
                                        ; =>  This Inner Loop Header: Depth=2
	s_add_u32 s28, s0, s20
	s_addc_u32 s29, s1, s21
	global_load_ubyte v6, v29, s[28:29]
	s_add_u32 s20, s20, 1
	s_addc_u32 s21, s21, 0
	s_waitcnt vmcnt(0)
	v_and_b32_e32 v28, 0xffff, v6
	v_lshlrev_b64 v[6:7], s18, v[28:29]
	s_add_u32 s18, s18, 8
	s_addc_u32 s19, s19, 0
	v_or_b32_e32 v12, v6, v12
	s_cmp_lg_u32 s26, s20
	v_or_b32_e32 v13, v7, v13
	s_cbranch_scc1 .LBB4_59
	s_branch .LBB4_62
.LBB4_60:                               ;   in Loop: Header=BB4_41 Depth=1
                                        ; implicit-def: $sgpr7
	s_branch .LBB4_63
.LBB4_61:                               ;   in Loop: Header=BB4_41 Depth=1
	v_mov_b64_e32 v[12:13], 0
.LBB4_62:                               ;   in Loop: Header=BB4_41 Depth=1
	s_mov_b32 s7, 0
	s_cbranch_execnz .LBB4_64
.LBB4_63:                               ;   in Loop: Header=BB4_41 Depth=1
	global_load_dwordx2 v[12:13], v29, s[0:1]
	s_add_i32 s7, s26, -8
	s_add_u32 s0, s0, 8
	s_addc_u32 s1, s1, 0
.LBB4_64:                               ;   in Loop: Header=BB4_41 Depth=1
	s_cmp_gt_u32 s7, 7
	s_cbranch_scc1 .LBB4_68
; %bb.65:                               ;   in Loop: Header=BB4_41 Depth=1
	s_cmp_eq_u32 s7, 0
	s_cbranch_scc1 .LBB4_69
; %bb.66:                               ;   in Loop: Header=BB4_41 Depth=1
	s_mov_b64 s[18:19], 0
	v_mov_b64_e32 v[14:15], 0
	s_mov_b64 s[20:21], 0
.LBB4_67:                               ;   Parent Loop BB4_41 Depth=1
                                        ; =>  This Inner Loop Header: Depth=2
	s_add_u32 s26, s0, s20
	s_addc_u32 s27, s1, s21
	global_load_ubyte v6, v29, s[26:27]
	s_add_u32 s20, s20, 1
	s_addc_u32 s21, s21, 0
	s_waitcnt vmcnt(0)
	v_and_b32_e32 v28, 0xffff, v6
	v_lshlrev_b64 v[6:7], s18, v[28:29]
	s_add_u32 s18, s18, 8
	s_addc_u32 s19, s19, 0
	v_or_b32_e32 v14, v6, v14
	s_cmp_lg_u32 s7, s20
	v_or_b32_e32 v15, v7, v15
	s_cbranch_scc1 .LBB4_67
	s_branch .LBB4_70
.LBB4_68:                               ;   in Loop: Header=BB4_41 Depth=1
                                        ; implicit-def: $vgpr14_vgpr15
                                        ; implicit-def: $sgpr26
	s_branch .LBB4_71
.LBB4_69:                               ;   in Loop: Header=BB4_41 Depth=1
	v_mov_b64_e32 v[14:15], 0
.LBB4_70:                               ;   in Loop: Header=BB4_41 Depth=1
	s_mov_b32 s26, 0
	s_cbranch_execnz .LBB4_72
.LBB4_71:                               ;   in Loop: Header=BB4_41 Depth=1
	global_load_dwordx2 v[14:15], v29, s[0:1]
	s_add_i32 s26, s7, -8
	s_add_u32 s0, s0, 8
	s_addc_u32 s1, s1, 0
.LBB4_72:                               ;   in Loop: Header=BB4_41 Depth=1
	s_cmp_gt_u32 s26, 7
	s_cbranch_scc1 .LBB4_76
; %bb.73:                               ;   in Loop: Header=BB4_41 Depth=1
	s_cmp_eq_u32 s26, 0
	s_cbranch_scc1 .LBB4_77
; %bb.74:                               ;   in Loop: Header=BB4_41 Depth=1
	s_mov_b64 s[18:19], 0
	v_mov_b64_e32 v[16:17], 0
	s_mov_b64 s[20:21], 0
.LBB4_75:                               ;   Parent Loop BB4_41 Depth=1
                                        ; =>  This Inner Loop Header: Depth=2
	s_add_u32 s28, s0, s20
	s_addc_u32 s29, s1, s21
	global_load_ubyte v6, v29, s[28:29]
	s_add_u32 s20, s20, 1
	s_addc_u32 s21, s21, 0
	s_waitcnt vmcnt(0)
	v_and_b32_e32 v28, 0xffff, v6
	v_lshlrev_b64 v[6:7], s18, v[28:29]
	s_add_u32 s18, s18, 8
	s_addc_u32 s19, s19, 0
	v_or_b32_e32 v16, v6, v16
	s_cmp_lg_u32 s26, s20
	v_or_b32_e32 v17, v7, v17
	s_cbranch_scc1 .LBB4_75
	s_branch .LBB4_78
.LBB4_76:                               ;   in Loop: Header=BB4_41 Depth=1
                                        ; implicit-def: $sgpr7
	s_branch .LBB4_79
.LBB4_77:                               ;   in Loop: Header=BB4_41 Depth=1
	v_mov_b64_e32 v[16:17], 0
.LBB4_78:                               ;   in Loop: Header=BB4_41 Depth=1
	s_mov_b32 s7, 0
	s_cbranch_execnz .LBB4_80
.LBB4_79:                               ;   in Loop: Header=BB4_41 Depth=1
	global_load_dwordx2 v[16:17], v29, s[0:1]
	s_add_i32 s7, s26, -8
	s_add_u32 s0, s0, 8
	s_addc_u32 s1, s1, 0
.LBB4_80:                               ;   in Loop: Header=BB4_41 Depth=1
	s_cmp_gt_u32 s7, 7
	s_cbranch_scc1 .LBB4_84
; %bb.81:                               ;   in Loop: Header=BB4_41 Depth=1
	s_cmp_eq_u32 s7, 0
	s_cbranch_scc1 .LBB4_85
; %bb.82:                               ;   in Loop: Header=BB4_41 Depth=1
	s_mov_b64 s[18:19], 0
	v_mov_b64_e32 v[18:19], 0
	s_mov_b64 s[20:21], 0
.LBB4_83:                               ;   Parent Loop BB4_41 Depth=1
                                        ; =>  This Inner Loop Header: Depth=2
	s_add_u32 s26, s0, s20
	s_addc_u32 s27, s1, s21
	global_load_ubyte v6, v29, s[26:27]
	s_add_u32 s20, s20, 1
	s_addc_u32 s21, s21, 0
	s_waitcnt vmcnt(0)
	v_and_b32_e32 v28, 0xffff, v6
	v_lshlrev_b64 v[6:7], s18, v[28:29]
	s_add_u32 s18, s18, 8
	s_addc_u32 s19, s19, 0
	v_or_b32_e32 v18, v6, v18
	s_cmp_lg_u32 s7, s20
	v_or_b32_e32 v19, v7, v19
	s_cbranch_scc1 .LBB4_83
	s_branch .LBB4_86
.LBB4_84:                               ;   in Loop: Header=BB4_41 Depth=1
                                        ; implicit-def: $vgpr18_vgpr19
                                        ; implicit-def: $sgpr26
	s_branch .LBB4_87
.LBB4_85:                               ;   in Loop: Header=BB4_41 Depth=1
	v_mov_b64_e32 v[18:19], 0
.LBB4_86:                               ;   in Loop: Header=BB4_41 Depth=1
	s_mov_b32 s26, 0
	s_cbranch_execnz .LBB4_88
.LBB4_87:                               ;   in Loop: Header=BB4_41 Depth=1
	global_load_dwordx2 v[18:19], v29, s[0:1]
	s_add_i32 s26, s7, -8
	s_add_u32 s0, s0, 8
	s_addc_u32 s1, s1, 0
.LBB4_88:                               ;   in Loop: Header=BB4_41 Depth=1
	s_cmp_gt_u32 s26, 7
	s_cbranch_scc1 .LBB4_92
; %bb.89:                               ;   in Loop: Header=BB4_41 Depth=1
	s_cmp_eq_u32 s26, 0
	s_cbranch_scc1 .LBB4_93
; %bb.90:                               ;   in Loop: Header=BB4_41 Depth=1
	s_mov_b64 s[18:19], 0
	v_mov_b64_e32 v[20:21], 0
	s_mov_b64 s[20:21], s[0:1]
.LBB4_91:                               ;   Parent Loop BB4_41 Depth=1
                                        ; =>  This Inner Loop Header: Depth=2
	global_load_ubyte v6, v29, s[20:21]
	s_add_i32 s26, s26, -1
	s_waitcnt vmcnt(0)
	v_and_b32_e32 v28, 0xffff, v6
	v_lshlrev_b64 v[6:7], s18, v[28:29]
	s_add_u32 s18, s18, 8
	s_addc_u32 s19, s19, 0
	s_add_u32 s20, s20, 1
	s_addc_u32 s21, s21, 0
	v_or_b32_e32 v20, v6, v20
	s_cmp_lg_u32 s26, 0
	v_or_b32_e32 v21, v7, v21
	s_cbranch_scc1 .LBB4_91
	s_branch .LBB4_94
.LBB4_92:                               ;   in Loop: Header=BB4_41 Depth=1
	s_branch .LBB4_95
.LBB4_93:                               ;   in Loop: Header=BB4_41 Depth=1
	v_mov_b64_e32 v[20:21], 0
.LBB4_94:                               ;   in Loop: Header=BB4_41 Depth=1
	s_cbranch_execnz .LBB4_96
.LBB4_95:                               ;   in Loop: Header=BB4_41 Depth=1
	global_load_dwordx2 v[20:21], v29, s[0:1]
.LBB4_96:                               ;   in Loop: Header=BB4_41 Depth=1
	v_readfirstlane_b32 s0, v37
	v_mov_b64_e32 v[6:7], 0
	s_nop 0
	v_cmp_eq_u32_e64 s[0:1], s0, v37
	s_and_saveexec_b64 s[18:19], s[0:1]
	s_cbranch_execz .LBB4_102
; %bb.97:                               ;   in Loop: Header=BB4_41 Depth=1
	global_load_dwordx2 v[24:25], v29, s[24:25] offset:24 sc0 sc1
	s_waitcnt vmcnt(0)
	buffer_inv sc0 sc1
	global_load_dwordx2 v[6:7], v29, s[24:25] offset:40
	global_load_dwordx2 v[22:23], v29, s[24:25]
	s_waitcnt vmcnt(1)
	v_and_b32_e32 v6, v6, v24
	v_and_b32_e32 v7, v7, v25
	v_mul_lo_u32 v7, v7, 24
	v_mul_hi_u32 v27, v6, 24
	v_add_u32_e32 v7, v27, v7
	v_mul_lo_u32 v6, v6, 24
	s_waitcnt vmcnt(0)
	v_lshl_add_u64 v[6:7], v[22:23], 0, v[6:7]
	global_load_dwordx2 v[22:23], v[6:7], off sc0 sc1
	s_waitcnt vmcnt(0)
	global_atomic_cmpswap_x2 v[6:7], v29, v[22:25], s[24:25] offset:24 sc0 sc1
	s_waitcnt vmcnt(0)
	buffer_inv sc0 sc1
	v_cmp_ne_u64_e32 vcc, v[6:7], v[24:25]
	s_and_saveexec_b64 s[20:21], vcc
	s_cbranch_execz .LBB4_101
; %bb.98:                               ;   in Loop: Header=BB4_41 Depth=1
	s_mov_b64 s[26:27], 0
.LBB4_99:                               ;   Parent Loop BB4_41 Depth=1
                                        ; =>  This Inner Loop Header: Depth=2
	s_sleep 1
	global_load_dwordx2 v[22:23], v29, s[24:25] offset:40
	global_load_dwordx2 v[30:31], v29, s[24:25]
	v_mov_b64_e32 v[24:25], v[6:7]
	s_waitcnt vmcnt(1)
	v_and_b32_e32 v6, v22, v24
	s_waitcnt vmcnt(0)
	v_mad_u64_u32 v[6:7], s[28:29], v6, 24, v[30:31]
	v_and_b32_e32 v23, v23, v25
	v_mov_b32_e32 v22, v7
	v_mad_u64_u32 v[22:23], s[28:29], v23, 24, v[22:23]
	v_mov_b32_e32 v7, v22
	global_load_dwordx2 v[22:23], v[6:7], off sc0 sc1
	s_waitcnt vmcnt(0)
	global_atomic_cmpswap_x2 v[6:7], v29, v[22:25], s[24:25] offset:24 sc0 sc1
	s_waitcnt vmcnt(0)
	buffer_inv sc0 sc1
	v_cmp_eq_u64_e32 vcc, v[6:7], v[24:25]
	s_or_b64 s[26:27], vcc, s[26:27]
	s_andn2_b64 exec, exec, s[26:27]
	s_cbranch_execnz .LBB4_99
; %bb.100:                              ;   in Loop: Header=BB4_41 Depth=1
	s_or_b64 exec, exec, s[26:27]
.LBB4_101:                              ;   in Loop: Header=BB4_41 Depth=1
	s_or_b64 exec, exec, s[20:21]
.LBB4_102:                              ;   in Loop: Header=BB4_41 Depth=1
	s_or_b64 exec, exec, s[18:19]
	global_load_dwordx2 v[30:31], v29, s[24:25] offset:40
	global_load_dwordx4 v[22:25], v29, s[24:25]
	v_readfirstlane_b32 s18, v6
	v_readfirstlane_b32 s19, v7
	s_mov_b64 s[20:21], exec
	s_waitcnt vmcnt(1)
	v_readfirstlane_b32 s26, v30
	v_readfirstlane_b32 s27, v31
	s_and_b64 s[26:27], s[18:19], s[26:27]
	s_mul_i32 s7, s27, 24
	s_mul_hi_u32 s28, s26, 24
	s_add_i32 s29, s28, s7
	s_mul_i32 s28, s26, 24
	s_waitcnt vmcnt(0)
	v_lshl_add_u64 v[30:31], v[22:23], 0, s[28:29]
	s_and_saveexec_b64 s[28:29], s[0:1]
	s_cbranch_execz .LBB4_104
; %bb.103:                              ;   in Loop: Header=BB4_41 Depth=1
	v_mov_b64_e32 v[6:7], s[20:21]
	global_store_dwordx4 v[30:31], v[6:9], off offset:8
.LBB4_104:                              ;   in Loop: Header=BB4_41 Depth=1
	s_or_b64 exec, exec, s[28:29]
	s_lshl_b64 s[20:21], s[26:27], 12
	v_lshl_add_u64 v[6:7], v[24:25], 0, s[20:21]
	v_or_b32_e32 v25, v0, v26
	v_cmp_gt_u64_e64 vcc, s[14:15], 56
	s_lshl_b32 s7, s16, 2
	s_add_i32 s7, s7, 28
	v_cndmask_b32_e32 v0, v25, v0, vcc
	v_or_b32_e32 v24, 0, v1
	s_and_b32 s7, s7, 0x1e0
	v_and_b32_e32 v0, 0xffffff1f, v0
	v_cndmask_b32_e32 v1, v24, v1, vcc
	v_or_b32_e32 v0, s7, v0
	v_readfirstlane_b32 s20, v6
	v_readfirstlane_b32 s21, v7
	s_nop 4
	global_store_dwordx4 v38, v[0:3], s[20:21]
	global_store_dwordx4 v38, v[10:13], s[20:21] offset:16
	global_store_dwordx4 v38, v[14:17], s[20:21] offset:32
	;; [unrolled: 1-line block ×3, first 2 shown]
	s_and_saveexec_b64 s[20:21], s[0:1]
	s_cbranch_execz .LBB4_112
; %bb.105:                              ;   in Loop: Header=BB4_41 Depth=1
	global_load_dwordx2 v[14:15], v29, s[24:25] offset:32 sc0 sc1
	global_load_dwordx2 v[0:1], v29, s[24:25] offset:40
	v_mov_b32_e32 v12, s18
	v_mov_b32_e32 v13, s19
	s_waitcnt vmcnt(0)
	v_readfirstlane_b32 s26, v0
	v_readfirstlane_b32 s27, v1
	s_and_b64 s[26:27], s[26:27], s[18:19]
	s_mul_i32 s7, s27, 24
	s_mul_hi_u32 s27, s26, 24
	s_mul_i32 s26, s26, 24
	s_add_i32 s27, s27, s7
	v_lshl_add_u64 v[10:11], v[22:23], 0, s[26:27]
	global_store_dwordx2 v[10:11], v[14:15], off
	buffer_wbl2 sc0 sc1
	s_waitcnt vmcnt(0)
	global_atomic_cmpswap_x2 v[2:3], v29, v[12:15], s[24:25] offset:32 sc0 sc1
	s_waitcnt vmcnt(0)
	v_cmp_ne_u64_e32 vcc, v[2:3], v[14:15]
	s_and_saveexec_b64 s[26:27], vcc
	s_cbranch_execz .LBB4_108
; %bb.106:                              ;   in Loop: Header=BB4_41 Depth=1
	s_mov_b64 s[28:29], 0
.LBB4_107:                              ;   Parent Loop BB4_41 Depth=1
                                        ; =>  This Inner Loop Header: Depth=2
	s_sleep 1
	global_store_dwordx2 v[10:11], v[2:3], off
	v_mov_b32_e32 v0, s18
	v_mov_b32_e32 v1, s19
	buffer_wbl2 sc0 sc1
	s_waitcnt vmcnt(0)
	global_atomic_cmpswap_x2 v[0:1], v29, v[0:3], s[24:25] offset:32 sc0 sc1
	s_waitcnt vmcnt(0)
	v_cmp_eq_u64_e32 vcc, v[0:1], v[2:3]
	s_or_b64 s[28:29], vcc, s[28:29]
	v_mov_b64_e32 v[2:3], v[0:1]
	s_andn2_b64 exec, exec, s[28:29]
	s_cbranch_execnz .LBB4_107
.LBB4_108:                              ;   in Loop: Header=BB4_41 Depth=1
	s_or_b64 exec, exec, s[26:27]
	global_load_dwordx2 v[0:1], v29, s[24:25] offset:16
	s_mov_b64 s[28:29], exec
	v_mbcnt_lo_u32_b32 v2, s28, 0
	v_mbcnt_hi_u32_b32 v2, s29, v2
	v_cmp_eq_u32_e32 vcc, 0, v2
	s_and_saveexec_b64 s[26:27], vcc
	s_cbranch_execz .LBB4_110
; %bb.109:                              ;   in Loop: Header=BB4_41 Depth=1
	s_bcnt1_i32_b64 s7, s[28:29]
	v_mov_b32_e32 v28, s7
	buffer_wbl2 sc0 sc1
	s_waitcnt vmcnt(0)
	global_atomic_add_x2 v[0:1], v[28:29], off offset:8 sc1
.LBB4_110:                              ;   in Loop: Header=BB4_41 Depth=1
	s_or_b64 exec, exec, s[26:27]
	s_waitcnt vmcnt(0)
	global_load_dwordx2 v[2:3], v[0:1], off offset:16
	s_waitcnt vmcnt(0)
	v_cmp_eq_u64_e32 vcc, 0, v[2:3]
	s_cbranch_vccnz .LBB4_112
; %bb.111:                              ;   in Loop: Header=BB4_41 Depth=1
	global_load_dword v28, v[0:1], off offset:24
	s_waitcnt vmcnt(0)
	v_and_b32_e32 v0, 0xffffff, v28
	s_nop 0
	v_readfirstlane_b32 m0, v0
	buffer_wbl2 sc0 sc1
	global_store_dwordx2 v[2:3], v[28:29], off sc0 sc1
	s_sendmsg sendmsg(MSG_INTERRUPT)
.LBB4_112:                              ;   in Loop: Header=BB4_41 Depth=1
	s_or_b64 exec, exec, s[20:21]
	v_mov_b32_e32 v39, v29
	v_lshl_add_u64 v[0:1], v[6:7], 0, v[38:39]
	s_branch .LBB4_116
.LBB4_113:                              ;   in Loop: Header=BB4_116 Depth=2
	s_or_b64 exec, exec, s[20:21]
	v_readfirstlane_b32 s7, v2
	s_cmp_eq_u32 s7, 0
	s_cbranch_scc1 .LBB4_115
; %bb.114:                              ;   in Loop: Header=BB4_116 Depth=2
	s_sleep 1
	s_cbranch_execnz .LBB4_116
	s_branch .LBB4_118
.LBB4_115:                              ;   in Loop: Header=BB4_41 Depth=1
	s_branch .LBB4_118
.LBB4_116:                              ;   Parent Loop BB4_41 Depth=1
                                        ; =>  This Inner Loop Header: Depth=2
	v_mov_b32_e32 v2, 1
	s_and_saveexec_b64 s[20:21], s[0:1]
	s_cbranch_execz .LBB4_113
; %bb.117:                              ;   in Loop: Header=BB4_116 Depth=2
	global_load_dword v2, v[30:31], off offset:20 sc0 sc1
	s_waitcnt vmcnt(0)
	buffer_inv sc0 sc1
	v_and_b32_e32 v2, 1, v2
	s_branch .LBB4_113
.LBB4_118:                              ;   in Loop: Header=BB4_41 Depth=1
	global_load_dwordx4 v[0:3], v[0:1], off
	s_and_saveexec_b64 s[20:21], s[0:1]
	s_cbranch_execz .LBB4_40
; %bb.119:                              ;   in Loop: Header=BB4_41 Depth=1
	global_load_dwordx2 v[2:3], v29, s[24:25] offset:40
	global_load_dwordx2 v[6:7], v29, s[24:25] offset:24 sc0 sc1
	global_load_dwordx2 v[14:15], v29, s[24:25]
	s_waitcnt vmcnt(2)
	v_lshl_add_u64 v[10:11], v[2:3], 0, 1
	v_lshl_add_u64 v[16:17], v[10:11], 0, s[18:19]
	v_cmp_eq_u64_e32 vcc, 0, v[16:17]
	s_waitcnt vmcnt(1)
	v_mov_b32_e32 v12, v6
	v_cndmask_b32_e32 v11, v17, v11, vcc
	v_cndmask_b32_e32 v10, v16, v10, vcc
	v_and_b32_e32 v3, v11, v3
	v_and_b32_e32 v2, v10, v2
	v_mul_lo_u32 v3, v3, 24
	v_mul_hi_u32 v13, v2, 24
	v_mul_lo_u32 v2, v2, 24
	v_add_u32_e32 v3, v13, v3
	s_waitcnt vmcnt(0)
	v_lshl_add_u64 v[2:3], v[14:15], 0, v[2:3]
	global_store_dwordx2 v[2:3], v[6:7], off
	v_mov_b32_e32 v13, v7
	buffer_wbl2 sc0 sc1
	s_waitcnt vmcnt(0)
	global_atomic_cmpswap_x2 v[12:13], v29, v[10:13], s[24:25] offset:24 sc0 sc1
	s_waitcnt vmcnt(0)
	v_cmp_ne_u64_e32 vcc, v[12:13], v[6:7]
	s_and_b64 exec, exec, vcc
	s_cbranch_execz .LBB4_40
; %bb.120:                              ;   in Loop: Header=BB4_41 Depth=1
	s_mov_b64 s[0:1], 0
.LBB4_121:                              ;   Parent Loop BB4_41 Depth=1
                                        ; =>  This Inner Loop Header: Depth=2
	s_sleep 1
	global_store_dwordx2 v[2:3], v[12:13], off
	buffer_wbl2 sc0 sc1
	s_waitcnt vmcnt(0)
	global_atomic_cmpswap_x2 v[6:7], v29, v[10:13], s[24:25] offset:24 sc0 sc1
	s_waitcnt vmcnt(0)
	v_cmp_eq_u64_e32 vcc, v[6:7], v[12:13]
	s_or_b64 s[0:1], vcc, s[0:1]
	v_mov_b64_e32 v[12:13], v[6:7]
	s_andn2_b64 exec, exec, s[0:1]
	s_cbranch_execnz .LBB4_121
	s_branch .LBB4_40
.LBB4_122:
	s_branch .LBB4_150
.LBB4_123:
                                        ; implicit-def: $vgpr0_vgpr1
	s_cbranch_execz .LBB4_150
; %bb.124:
	v_readfirstlane_b32 s0, v37
	v_mov_b64_e32 v[6:7], 0
	s_nop 0
	v_cmp_eq_u32_e64 s[0:1], s0, v37
	s_and_saveexec_b64 s[12:13], s[0:1]
	s_cbranch_execz .LBB4_130
; %bb.125:
	s_waitcnt vmcnt(0)
	v_mov_b32_e32 v0, 0
	global_load_dwordx2 v[8:9], v0, s[24:25] offset:24 sc0 sc1
	s_waitcnt vmcnt(0)
	buffer_inv sc0 sc1
	global_load_dwordx2 v[2:3], v0, s[24:25] offset:40
	global_load_dwordx2 v[6:7], v0, s[24:25]
	s_waitcnt vmcnt(1)
	v_and_b32_e32 v1, v2, v8
	v_and_b32_e32 v2, v3, v9
	v_mul_lo_u32 v2, v2, 24
	v_mul_hi_u32 v3, v1, 24
	v_add_u32_e32 v3, v3, v2
	v_mul_lo_u32 v2, v1, 24
	s_waitcnt vmcnt(0)
	v_lshl_add_u64 v[2:3], v[6:7], 0, v[2:3]
	global_load_dwordx2 v[6:7], v[2:3], off sc0 sc1
	s_waitcnt vmcnt(0)
	global_atomic_cmpswap_x2 v[6:7], v0, v[6:9], s[24:25] offset:24 sc0 sc1
	s_waitcnt vmcnt(0)
	buffer_inv sc0 sc1
	v_cmp_ne_u64_e32 vcc, v[6:7], v[8:9]
	s_and_saveexec_b64 s[14:15], vcc
	s_cbranch_execz .LBB4_129
; %bb.126:
	s_mov_b64 s[16:17], 0
.LBB4_127:                              ; =>This Inner Loop Header: Depth=1
	s_sleep 1
	global_load_dwordx2 v[2:3], v0, s[24:25] offset:40
	global_load_dwordx2 v[10:11], v0, s[24:25]
	v_mov_b64_e32 v[8:9], v[6:7]
	s_waitcnt vmcnt(1)
	v_and_b32_e32 v2, v2, v8
	v_and_b32_e32 v1, v3, v9
	s_waitcnt vmcnt(0)
	v_mad_u64_u32 v[2:3], s[18:19], v2, 24, v[10:11]
	v_mov_b32_e32 v6, v3
	v_mad_u64_u32 v[6:7], s[18:19], v1, 24, v[6:7]
	v_mov_b32_e32 v3, v6
	global_load_dwordx2 v[6:7], v[2:3], off sc0 sc1
	s_waitcnt vmcnt(0)
	global_atomic_cmpswap_x2 v[6:7], v0, v[6:9], s[24:25] offset:24 sc0 sc1
	s_waitcnt vmcnt(0)
	buffer_inv sc0 sc1
	v_cmp_eq_u64_e32 vcc, v[6:7], v[8:9]
	s_or_b64 s[16:17], vcc, s[16:17]
	s_andn2_b64 exec, exec, s[16:17]
	s_cbranch_execnz .LBB4_127
; %bb.128:
	s_or_b64 exec, exec, s[16:17]
.LBB4_129:
	s_or_b64 exec, exec, s[14:15]
.LBB4_130:
	s_or_b64 exec, exec, s[12:13]
	v_mov_b32_e32 v39, 0
	global_load_dwordx2 v[8:9], v39, s[24:25] offset:40
	global_load_dwordx4 v[0:3], v39, s[24:25]
	v_readfirstlane_b32 s12, v6
	v_readfirstlane_b32 s13, v7
	s_mov_b64 s[14:15], exec
	s_waitcnt vmcnt(1)
	v_readfirstlane_b32 s16, v8
	v_readfirstlane_b32 s17, v9
	s_and_b64 s[16:17], s[12:13], s[16:17]
	s_mul_i32 s7, s17, 24
	s_mul_hi_u32 s18, s16, 24
	s_add_i32 s19, s18, s7
	s_mul_i32 s18, s16, 24
	s_waitcnt vmcnt(0)
	v_lshl_add_u64 v[8:9], v[0:1], 0, s[18:19]
	s_and_saveexec_b64 s[18:19], s[0:1]
	s_cbranch_execz .LBB4_132
; %bb.131:
	v_mov_b64_e32 v[10:11], s[14:15]
	v_mov_b32_e32 v12, 2
	v_mov_b32_e32 v13, 1
	global_store_dwordx4 v[8:9], v[10:13], off offset:8
.LBB4_132:
	s_or_b64 exec, exec, s[18:19]
	s_lshl_b64 s[14:15], s[16:17], 12
	v_lshl_add_u64 v[10:11], v[2:3], 0, s[14:15]
	s_movk_i32 s7, 0xff1f
	s_mov_b32 s16, 0
	v_and_or_b32 v4, v4, s7, 32
	v_mov_b32_e32 v6, v39
	v_mov_b32_e32 v7, v39
	v_readfirstlane_b32 s14, v10
	v_readfirstlane_b32 s15, v11
	s_mov_b32 s17, s16
	s_mov_b32 s18, s16
	s_mov_b32 s19, s16
	s_nop 1
	global_store_dwordx4 v38, v[4:7], s[14:15]
	v_mov_b64_e32 v[2:3], s[16:17]
	s_nop 0
	v_mov_b64_e32 v[4:5], s[18:19]
	global_store_dwordx4 v38, v[2:5], s[14:15] offset:16
	global_store_dwordx4 v38, v[2:5], s[14:15] offset:32
	;; [unrolled: 1-line block ×3, first 2 shown]
	s_and_saveexec_b64 s[14:15], s[0:1]
	s_cbranch_execz .LBB4_140
; %bb.133:
	v_mov_b32_e32 v6, 0
	global_load_dwordx2 v[14:15], v6, s[24:25] offset:32 sc0 sc1
	global_load_dwordx2 v[2:3], v6, s[24:25] offset:40
	v_mov_b32_e32 v12, s12
	v_mov_b32_e32 v13, s13
	s_waitcnt vmcnt(0)
	v_readfirstlane_b32 s16, v2
	v_readfirstlane_b32 s17, v3
	s_and_b64 s[16:17], s[16:17], s[12:13]
	s_mul_i32 s7, s17, 24
	s_mul_hi_u32 s17, s16, 24
	s_mul_i32 s16, s16, 24
	s_add_i32 s17, s17, s7
	v_lshl_add_u64 v[4:5], v[0:1], 0, s[16:17]
	global_store_dwordx2 v[4:5], v[14:15], off
	buffer_wbl2 sc0 sc1
	s_waitcnt vmcnt(0)
	global_atomic_cmpswap_x2 v[2:3], v6, v[12:15], s[24:25] offset:32 sc0 sc1
	s_waitcnt vmcnt(0)
	v_cmp_ne_u64_e32 vcc, v[2:3], v[14:15]
	s_and_saveexec_b64 s[16:17], vcc
	s_cbranch_execz .LBB4_136
; %bb.134:
	s_mov_b64 s[18:19], 0
.LBB4_135:                              ; =>This Inner Loop Header: Depth=1
	s_sleep 1
	global_store_dwordx2 v[4:5], v[2:3], off
	v_mov_b32_e32 v0, s12
	v_mov_b32_e32 v1, s13
	buffer_wbl2 sc0 sc1
	s_waitcnt vmcnt(0)
	global_atomic_cmpswap_x2 v[0:1], v6, v[0:3], s[24:25] offset:32 sc0 sc1
	s_waitcnt vmcnt(0)
	v_cmp_eq_u64_e32 vcc, v[0:1], v[2:3]
	s_or_b64 s[18:19], vcc, s[18:19]
	v_mov_b64_e32 v[2:3], v[0:1]
	s_andn2_b64 exec, exec, s[18:19]
	s_cbranch_execnz .LBB4_135
.LBB4_136:
	s_or_b64 exec, exec, s[16:17]
	v_mov_b32_e32 v3, 0
	global_load_dwordx2 v[0:1], v3, s[24:25] offset:16
	s_mov_b64 s[16:17], exec
	v_mbcnt_lo_u32_b32 v2, s16, 0
	v_mbcnt_hi_u32_b32 v2, s17, v2
	v_cmp_eq_u32_e32 vcc, 0, v2
	s_and_saveexec_b64 s[18:19], vcc
	s_cbranch_execz .LBB4_138
; %bb.137:
	s_bcnt1_i32_b64 s7, s[16:17]
	v_mov_b32_e32 v2, s7
	buffer_wbl2 sc0 sc1
	s_waitcnt vmcnt(0)
	global_atomic_add_x2 v[0:1], v[2:3], off offset:8 sc1
.LBB4_138:
	s_or_b64 exec, exec, s[18:19]
	s_waitcnt vmcnt(0)
	global_load_dwordx2 v[2:3], v[0:1], off offset:16
	s_waitcnt vmcnt(0)
	v_cmp_eq_u64_e32 vcc, 0, v[2:3]
	s_cbranch_vccnz .LBB4_140
; %bb.139:
	global_load_dword v0, v[0:1], off offset:24
	v_mov_b32_e32 v1, 0
	buffer_wbl2 sc0 sc1
	s_waitcnt vmcnt(0)
	global_store_dwordx2 v[2:3], v[0:1], off sc0 sc1
	v_and_b32_e32 v0, 0xffffff, v0
	s_nop 0
	v_readfirstlane_b32 m0, v0
	s_sendmsg sendmsg(MSG_INTERRUPT)
.LBB4_140:
	s_or_b64 exec, exec, s[14:15]
	v_lshl_add_u64 v[0:1], v[10:11], 0, v[38:39]
	s_branch .LBB4_144
.LBB4_141:                              ;   in Loop: Header=BB4_144 Depth=1
	s_or_b64 exec, exec, s[14:15]
	v_readfirstlane_b32 s7, v2
	s_cmp_eq_u32 s7, 0
	s_cbranch_scc1 .LBB4_143
; %bb.142:                              ;   in Loop: Header=BB4_144 Depth=1
	s_sleep 1
	s_cbranch_execnz .LBB4_144
	s_branch .LBB4_146
.LBB4_143:
	s_branch .LBB4_146
.LBB4_144:                              ; =>This Inner Loop Header: Depth=1
	v_mov_b32_e32 v2, 1
	s_and_saveexec_b64 s[14:15], s[0:1]
	s_cbranch_execz .LBB4_141
; %bb.145:                              ;   in Loop: Header=BB4_144 Depth=1
	global_load_dword v2, v[8:9], off offset:20 sc0 sc1
	s_waitcnt vmcnt(0)
	buffer_inv sc0 sc1
	v_and_b32_e32 v2, 1, v2
	s_branch .LBB4_141
.LBB4_146:
	global_load_dwordx2 v[0:1], v[0:1], off
	s_and_saveexec_b64 s[14:15], s[0:1]
	s_cbranch_execz .LBB4_149
; %bb.147:
	v_mov_b32_e32 v8, 0
	global_load_dwordx2 v[6:7], v8, s[24:25] offset:40
	global_load_dwordx2 v[10:11], v8, s[24:25] offset:24 sc0 sc1
	global_load_dwordx2 v[12:13], v8, s[24:25]
	s_mov_b64 s[0:1], 0
	s_waitcnt vmcnt(2)
	v_lshl_add_u64 v[2:3], v[6:7], 0, 1
	v_lshl_add_u64 v[14:15], v[2:3], 0, s[12:13]
	v_cmp_eq_u64_e32 vcc, 0, v[14:15]
	s_waitcnt vmcnt(1)
	v_mov_b32_e32 v4, v10
	v_cndmask_b32_e32 v3, v15, v3, vcc
	v_cndmask_b32_e32 v2, v14, v2, vcc
	v_and_b32_e32 v5, v3, v7
	v_and_b32_e32 v6, v2, v6
	v_mul_lo_u32 v5, v5, 24
	v_mul_hi_u32 v7, v6, 24
	v_mul_lo_u32 v6, v6, 24
	v_add_u32_e32 v7, v7, v5
	s_waitcnt vmcnt(0)
	v_lshl_add_u64 v[6:7], v[12:13], 0, v[6:7]
	global_store_dwordx2 v[6:7], v[10:11], off
	v_mov_b32_e32 v5, v11
	buffer_wbl2 sc0 sc1
	s_waitcnt vmcnt(0)
	global_atomic_cmpswap_x2 v[4:5], v8, v[2:5], s[24:25] offset:24 sc0 sc1
	s_waitcnt vmcnt(0)
	v_cmp_ne_u64_e32 vcc, v[4:5], v[10:11]
	s_and_b64 exec, exec, vcc
	s_cbranch_execz .LBB4_149
.LBB4_148:                              ; =>This Inner Loop Header: Depth=1
	s_sleep 1
	global_store_dwordx2 v[6:7], v[4:5], off
	buffer_wbl2 sc0 sc1
	s_waitcnt vmcnt(0)
	global_atomic_cmpswap_x2 v[10:11], v8, v[2:5], s[24:25] offset:24 sc0 sc1
	s_waitcnt vmcnt(0)
	v_cmp_eq_u64_e32 vcc, v[10:11], v[4:5]
	s_or_b64 s[0:1], vcc, s[0:1]
	v_mov_b64_e32 v[4:5], v[10:11]
	s_andn2_b64 exec, exec, s[0:1]
	s_cbranch_execnz .LBB4_148
.LBB4_149:
	s_or_b64 exec, exec, s[14:15]
.LBB4_150:
	s_getpc_b64 s[12:13]
	s_add_u32 s12, s12, __PRETTY_FUNCTION__._ZL11equal_falseRN8migraphx4test12test_managerE@rel32@lo+4
	s_addc_u32 s13, s13, __PRETTY_FUNCTION__._ZL11equal_falseRN8migraphx4test12test_managerE@rel32@hi+12
	s_cmp_lg_u64 s[12:13], 0
	s_cbranch_scc0 .LBB4_235
; %bb.151:
	s_waitcnt vmcnt(0)
	v_and_b32_e32 v6, -3, v0
	v_mov_b32_e32 v7, v1
	s_mov_b64 s[14:15], 49
	v_mov_b32_e32 v27, 0
	v_mov_b32_e32 v4, 2
	;; [unrolled: 1-line block ×3, first 2 shown]
	s_branch .LBB4_153
.LBB4_152:                              ;   in Loop: Header=BB4_153 Depth=1
	s_or_b64 exec, exec, s[20:21]
	s_sub_u32 s14, s14, s16
	s_subb_u32 s15, s15, s17
	s_add_u32 s12, s12, s16
	s_addc_u32 s13, s13, s17
	s_cmp_lg_u64 s[14:15], 0
	s_cbranch_scc0 .LBB4_234
.LBB4_153:                              ; =>This Loop Header: Depth=1
                                        ;     Child Loop BB4_156 Depth 2
                                        ;     Child Loop BB4_163 Depth 2
	;; [unrolled: 1-line block ×11, first 2 shown]
	v_cmp_lt_u64_e64 s[0:1], s[14:15], 56
	s_and_b64 s[0:1], s[0:1], exec
	v_cmp_gt_u64_e64 s[0:1], s[14:15], 7
	s_cselect_b32 s17, s15, 0
	s_cselect_b32 s16, s14, 56
	s_and_b64 vcc, exec, s[0:1]
	s_cbranch_vccnz .LBB4_158
; %bb.154:                              ;   in Loop: Header=BB4_153 Depth=1
	s_mov_b64 s[0:1], 0
	s_cmp_eq_u64 s[14:15], 0
	s_waitcnt vmcnt(0)
	v_mov_b64_e32 v[8:9], 0
	s_cbranch_scc1 .LBB4_157
; %bb.155:                              ;   in Loop: Header=BB4_153 Depth=1
	s_lshl_b64 s[18:19], s[16:17], 3
	s_mov_b64 s[20:21], 0
	v_mov_b64_e32 v[8:9], 0
	s_mov_b64 s[26:27], s[12:13]
.LBB4_156:                              ;   Parent Loop BB4_153 Depth=1
                                        ; =>  This Inner Loop Header: Depth=2
	global_load_ubyte v2, v27, s[26:27]
	s_waitcnt vmcnt(0)
	v_and_b32_e32 v26, 0xffff, v2
	v_lshlrev_b64 v[2:3], s20, v[26:27]
	s_add_u32 s20, s20, 8
	s_addc_u32 s21, s21, 0
	s_add_u32 s26, s26, 1
	s_addc_u32 s27, s27, 0
	v_or_b32_e32 v8, v2, v8
	s_cmp_lg_u32 s18, s20
	v_or_b32_e32 v9, v3, v9
	s_cbranch_scc1 .LBB4_156
.LBB4_157:                              ;   in Loop: Header=BB4_153 Depth=1
	s_mov_b32 s7, 0
	s_andn2_b64 vcc, exec, s[0:1]
	s_mov_b64 s[0:1], s[12:13]
	s_cbranch_vccz .LBB4_159
	s_branch .LBB4_160
.LBB4_158:                              ;   in Loop: Header=BB4_153 Depth=1
                                        ; implicit-def: $sgpr7
	s_mov_b64 s[0:1], s[12:13]
.LBB4_159:                              ;   in Loop: Header=BB4_153 Depth=1
	global_load_dwordx2 v[8:9], v27, s[12:13]
	s_add_i32 s7, s16, -8
	s_add_u32 s0, s12, 8
	s_addc_u32 s1, s13, 0
.LBB4_160:                              ;   in Loop: Header=BB4_153 Depth=1
	s_cmp_gt_u32 s7, 7
	s_cbranch_scc1 .LBB4_164
; %bb.161:                              ;   in Loop: Header=BB4_153 Depth=1
	s_cmp_eq_u32 s7, 0
	s_cbranch_scc1 .LBB4_165
; %bb.162:                              ;   in Loop: Header=BB4_153 Depth=1
	s_mov_b64 s[18:19], 0
	v_mov_b64_e32 v[10:11], 0
	s_mov_b64 s[20:21], 0
.LBB4_163:                              ;   Parent Loop BB4_153 Depth=1
                                        ; =>  This Inner Loop Header: Depth=2
	s_add_u32 s26, s0, s20
	s_addc_u32 s27, s1, s21
	global_load_ubyte v2, v27, s[26:27]
	s_add_u32 s20, s20, 1
	s_addc_u32 s21, s21, 0
	s_waitcnt vmcnt(0)
	v_and_b32_e32 v26, 0xffff, v2
	v_lshlrev_b64 v[2:3], s18, v[26:27]
	s_add_u32 s18, s18, 8
	s_addc_u32 s19, s19, 0
	v_or_b32_e32 v10, v2, v10
	s_cmp_lg_u32 s7, s20
	v_or_b32_e32 v11, v3, v11
	s_cbranch_scc1 .LBB4_163
	s_branch .LBB4_166
.LBB4_164:                              ;   in Loop: Header=BB4_153 Depth=1
                                        ; implicit-def: $vgpr10_vgpr11
                                        ; implicit-def: $sgpr26
	s_branch .LBB4_167
.LBB4_165:                              ;   in Loop: Header=BB4_153 Depth=1
	v_mov_b64_e32 v[10:11], 0
.LBB4_166:                              ;   in Loop: Header=BB4_153 Depth=1
	s_mov_b32 s26, 0
	s_cbranch_execnz .LBB4_168
.LBB4_167:                              ;   in Loop: Header=BB4_153 Depth=1
	global_load_dwordx2 v[10:11], v27, s[0:1]
	s_add_i32 s26, s7, -8
	s_add_u32 s0, s0, 8
	s_addc_u32 s1, s1, 0
.LBB4_168:                              ;   in Loop: Header=BB4_153 Depth=1
	s_cmp_gt_u32 s26, 7
	s_cbranch_scc1 .LBB4_172
; %bb.169:                              ;   in Loop: Header=BB4_153 Depth=1
	s_cmp_eq_u32 s26, 0
	s_cbranch_scc1 .LBB4_173
; %bb.170:                              ;   in Loop: Header=BB4_153 Depth=1
	s_mov_b64 s[18:19], 0
	v_mov_b64_e32 v[12:13], 0
	s_mov_b64 s[20:21], 0
.LBB4_171:                              ;   Parent Loop BB4_153 Depth=1
                                        ; =>  This Inner Loop Header: Depth=2
	s_add_u32 s28, s0, s20
	s_addc_u32 s29, s1, s21
	global_load_ubyte v2, v27, s[28:29]
	s_add_u32 s20, s20, 1
	s_addc_u32 s21, s21, 0
	s_waitcnt vmcnt(0)
	v_and_b32_e32 v26, 0xffff, v2
	v_lshlrev_b64 v[2:3], s18, v[26:27]
	s_add_u32 s18, s18, 8
	s_addc_u32 s19, s19, 0
	v_or_b32_e32 v12, v2, v12
	s_cmp_lg_u32 s26, s20
	v_or_b32_e32 v13, v3, v13
	s_cbranch_scc1 .LBB4_171
	s_branch .LBB4_174
.LBB4_172:                              ;   in Loop: Header=BB4_153 Depth=1
                                        ; implicit-def: $sgpr7
	s_branch .LBB4_175
.LBB4_173:                              ;   in Loop: Header=BB4_153 Depth=1
	v_mov_b64_e32 v[12:13], 0
.LBB4_174:                              ;   in Loop: Header=BB4_153 Depth=1
	s_mov_b32 s7, 0
	s_cbranch_execnz .LBB4_176
.LBB4_175:                              ;   in Loop: Header=BB4_153 Depth=1
	global_load_dwordx2 v[12:13], v27, s[0:1]
	s_add_i32 s7, s26, -8
	s_add_u32 s0, s0, 8
	s_addc_u32 s1, s1, 0
.LBB4_176:                              ;   in Loop: Header=BB4_153 Depth=1
	s_cmp_gt_u32 s7, 7
	s_cbranch_scc1 .LBB4_180
; %bb.177:                              ;   in Loop: Header=BB4_153 Depth=1
	s_cmp_eq_u32 s7, 0
	s_cbranch_scc1 .LBB4_181
; %bb.178:                              ;   in Loop: Header=BB4_153 Depth=1
	s_mov_b64 s[18:19], 0
	v_mov_b64_e32 v[14:15], 0
	s_mov_b64 s[20:21], 0
.LBB4_179:                              ;   Parent Loop BB4_153 Depth=1
                                        ; =>  This Inner Loop Header: Depth=2
	s_add_u32 s26, s0, s20
	s_addc_u32 s27, s1, s21
	global_load_ubyte v2, v27, s[26:27]
	s_add_u32 s20, s20, 1
	s_addc_u32 s21, s21, 0
	s_waitcnt vmcnt(0)
	v_and_b32_e32 v26, 0xffff, v2
	v_lshlrev_b64 v[2:3], s18, v[26:27]
	s_add_u32 s18, s18, 8
	s_addc_u32 s19, s19, 0
	v_or_b32_e32 v14, v2, v14
	s_cmp_lg_u32 s7, s20
	v_or_b32_e32 v15, v3, v15
	s_cbranch_scc1 .LBB4_179
	s_branch .LBB4_182
.LBB4_180:                              ;   in Loop: Header=BB4_153 Depth=1
                                        ; implicit-def: $vgpr14_vgpr15
                                        ; implicit-def: $sgpr26
	s_branch .LBB4_183
.LBB4_181:                              ;   in Loop: Header=BB4_153 Depth=1
	v_mov_b64_e32 v[14:15], 0
.LBB4_182:                              ;   in Loop: Header=BB4_153 Depth=1
	s_mov_b32 s26, 0
	s_cbranch_execnz .LBB4_184
.LBB4_183:                              ;   in Loop: Header=BB4_153 Depth=1
	global_load_dwordx2 v[14:15], v27, s[0:1]
	s_add_i32 s26, s7, -8
	s_add_u32 s0, s0, 8
	s_addc_u32 s1, s1, 0
.LBB4_184:                              ;   in Loop: Header=BB4_153 Depth=1
	s_cmp_gt_u32 s26, 7
	s_cbranch_scc1 .LBB4_188
; %bb.185:                              ;   in Loop: Header=BB4_153 Depth=1
	s_cmp_eq_u32 s26, 0
	s_cbranch_scc1 .LBB4_189
; %bb.186:                              ;   in Loop: Header=BB4_153 Depth=1
	s_mov_b64 s[18:19], 0
	v_mov_b64_e32 v[16:17], 0
	s_mov_b64 s[20:21], 0
.LBB4_187:                              ;   Parent Loop BB4_153 Depth=1
                                        ; =>  This Inner Loop Header: Depth=2
	s_add_u32 s28, s0, s20
	s_addc_u32 s29, s1, s21
	global_load_ubyte v2, v27, s[28:29]
	s_add_u32 s20, s20, 1
	s_addc_u32 s21, s21, 0
	s_waitcnt vmcnt(0)
	v_and_b32_e32 v26, 0xffff, v2
	v_lshlrev_b64 v[2:3], s18, v[26:27]
	s_add_u32 s18, s18, 8
	s_addc_u32 s19, s19, 0
	v_or_b32_e32 v16, v2, v16
	s_cmp_lg_u32 s26, s20
	v_or_b32_e32 v17, v3, v17
	s_cbranch_scc1 .LBB4_187
	s_branch .LBB4_190
.LBB4_188:                              ;   in Loop: Header=BB4_153 Depth=1
                                        ; implicit-def: $sgpr7
	s_branch .LBB4_191
.LBB4_189:                              ;   in Loop: Header=BB4_153 Depth=1
	v_mov_b64_e32 v[16:17], 0
.LBB4_190:                              ;   in Loop: Header=BB4_153 Depth=1
	s_mov_b32 s7, 0
	s_cbranch_execnz .LBB4_192
.LBB4_191:                              ;   in Loop: Header=BB4_153 Depth=1
	global_load_dwordx2 v[16:17], v27, s[0:1]
	s_add_i32 s7, s26, -8
	s_add_u32 s0, s0, 8
	s_addc_u32 s1, s1, 0
.LBB4_192:                              ;   in Loop: Header=BB4_153 Depth=1
	s_cmp_gt_u32 s7, 7
	s_cbranch_scc1 .LBB4_196
; %bb.193:                              ;   in Loop: Header=BB4_153 Depth=1
	s_cmp_eq_u32 s7, 0
	s_cbranch_scc1 .LBB4_197
; %bb.194:                              ;   in Loop: Header=BB4_153 Depth=1
	s_mov_b64 s[18:19], 0
	v_mov_b64_e32 v[18:19], 0
	s_mov_b64 s[20:21], 0
.LBB4_195:                              ;   Parent Loop BB4_153 Depth=1
                                        ; =>  This Inner Loop Header: Depth=2
	s_add_u32 s26, s0, s20
	s_addc_u32 s27, s1, s21
	global_load_ubyte v2, v27, s[26:27]
	s_add_u32 s20, s20, 1
	s_addc_u32 s21, s21, 0
	s_waitcnt vmcnt(0)
	v_and_b32_e32 v26, 0xffff, v2
	v_lshlrev_b64 v[2:3], s18, v[26:27]
	s_add_u32 s18, s18, 8
	s_addc_u32 s19, s19, 0
	v_or_b32_e32 v18, v2, v18
	s_cmp_lg_u32 s7, s20
	v_or_b32_e32 v19, v3, v19
	s_cbranch_scc1 .LBB4_195
	s_branch .LBB4_198
.LBB4_196:                              ;   in Loop: Header=BB4_153 Depth=1
                                        ; implicit-def: $vgpr18_vgpr19
                                        ; implicit-def: $sgpr26
	s_branch .LBB4_199
.LBB4_197:                              ;   in Loop: Header=BB4_153 Depth=1
	v_mov_b64_e32 v[18:19], 0
.LBB4_198:                              ;   in Loop: Header=BB4_153 Depth=1
	s_mov_b32 s26, 0
	s_cbranch_execnz .LBB4_200
.LBB4_199:                              ;   in Loop: Header=BB4_153 Depth=1
	global_load_dwordx2 v[18:19], v27, s[0:1]
	s_add_i32 s26, s7, -8
	s_add_u32 s0, s0, 8
	s_addc_u32 s1, s1, 0
.LBB4_200:                              ;   in Loop: Header=BB4_153 Depth=1
	s_cmp_gt_u32 s26, 7
	s_cbranch_scc1 .LBB4_204
; %bb.201:                              ;   in Loop: Header=BB4_153 Depth=1
	s_cmp_eq_u32 s26, 0
	s_cbranch_scc1 .LBB4_205
; %bb.202:                              ;   in Loop: Header=BB4_153 Depth=1
	s_mov_b64 s[18:19], 0
	v_mov_b64_e32 v[20:21], 0
	s_mov_b64 s[20:21], s[0:1]
.LBB4_203:                              ;   Parent Loop BB4_153 Depth=1
                                        ; =>  This Inner Loop Header: Depth=2
	global_load_ubyte v2, v27, s[20:21]
	s_add_i32 s26, s26, -1
	s_waitcnt vmcnt(0)
	v_and_b32_e32 v26, 0xffff, v2
	v_lshlrev_b64 v[2:3], s18, v[26:27]
	s_add_u32 s18, s18, 8
	s_addc_u32 s19, s19, 0
	s_add_u32 s20, s20, 1
	s_addc_u32 s21, s21, 0
	v_or_b32_e32 v20, v2, v20
	s_cmp_lg_u32 s26, 0
	v_or_b32_e32 v21, v3, v21
	s_cbranch_scc1 .LBB4_203
	s_branch .LBB4_206
.LBB4_204:                              ;   in Loop: Header=BB4_153 Depth=1
	s_branch .LBB4_207
.LBB4_205:                              ;   in Loop: Header=BB4_153 Depth=1
	v_mov_b64_e32 v[20:21], 0
.LBB4_206:                              ;   in Loop: Header=BB4_153 Depth=1
	s_cbranch_execnz .LBB4_208
.LBB4_207:                              ;   in Loop: Header=BB4_153 Depth=1
	global_load_dwordx2 v[20:21], v27, s[0:1]
.LBB4_208:                              ;   in Loop: Header=BB4_153 Depth=1
	v_readfirstlane_b32 s0, v37
	v_mov_b64_e32 v[2:3], 0
	s_nop 0
	v_cmp_eq_u32_e64 s[0:1], s0, v37
	s_and_saveexec_b64 s[18:19], s[0:1]
	s_cbranch_execz .LBB4_214
; %bb.209:                              ;   in Loop: Header=BB4_153 Depth=1
	global_load_dwordx2 v[24:25], v27, s[24:25] offset:24 sc0 sc1
	s_waitcnt vmcnt(0)
	buffer_inv sc0 sc1
	global_load_dwordx2 v[2:3], v27, s[24:25] offset:40
	global_load_dwordx2 v[22:23], v27, s[24:25]
	s_waitcnt vmcnt(1)
	v_and_b32_e32 v2, v2, v24
	v_and_b32_e32 v3, v3, v25
	v_mul_lo_u32 v3, v3, 24
	v_mul_hi_u32 v26, v2, 24
	v_add_u32_e32 v3, v26, v3
	v_mul_lo_u32 v2, v2, 24
	s_waitcnt vmcnt(0)
	v_lshl_add_u64 v[2:3], v[22:23], 0, v[2:3]
	global_load_dwordx2 v[22:23], v[2:3], off sc0 sc1
	s_waitcnt vmcnt(0)
	global_atomic_cmpswap_x2 v[2:3], v27, v[22:25], s[24:25] offset:24 sc0 sc1
	s_waitcnt vmcnt(0)
	buffer_inv sc0 sc1
	v_cmp_ne_u64_e32 vcc, v[2:3], v[24:25]
	s_and_saveexec_b64 s[20:21], vcc
	s_cbranch_execz .LBB4_213
; %bb.210:                              ;   in Loop: Header=BB4_153 Depth=1
	s_mov_b64 s[26:27], 0
.LBB4_211:                              ;   Parent Loop BB4_153 Depth=1
                                        ; =>  This Inner Loop Header: Depth=2
	s_sleep 1
	global_load_dwordx2 v[22:23], v27, s[24:25] offset:40
	global_load_dwordx2 v[28:29], v27, s[24:25]
	v_mov_b64_e32 v[24:25], v[2:3]
	s_waitcnt vmcnt(1)
	v_and_b32_e32 v2, v22, v24
	s_waitcnt vmcnt(0)
	v_mad_u64_u32 v[2:3], s[28:29], v2, 24, v[28:29]
	v_and_b32_e32 v23, v23, v25
	v_mov_b32_e32 v22, v3
	v_mad_u64_u32 v[22:23], s[28:29], v23, 24, v[22:23]
	v_mov_b32_e32 v3, v22
	global_load_dwordx2 v[22:23], v[2:3], off sc0 sc1
	s_waitcnt vmcnt(0)
	global_atomic_cmpswap_x2 v[2:3], v27, v[22:25], s[24:25] offset:24 sc0 sc1
	s_waitcnt vmcnt(0)
	buffer_inv sc0 sc1
	v_cmp_eq_u64_e32 vcc, v[2:3], v[24:25]
	s_or_b64 s[26:27], vcc, s[26:27]
	s_andn2_b64 exec, exec, s[26:27]
	s_cbranch_execnz .LBB4_211
; %bb.212:                              ;   in Loop: Header=BB4_153 Depth=1
	s_or_b64 exec, exec, s[26:27]
.LBB4_213:                              ;   in Loop: Header=BB4_153 Depth=1
	s_or_b64 exec, exec, s[20:21]
.LBB4_214:                              ;   in Loop: Header=BB4_153 Depth=1
	s_or_b64 exec, exec, s[18:19]
	global_load_dwordx2 v[28:29], v27, s[24:25] offset:40
	global_load_dwordx4 v[22:25], v27, s[24:25]
	v_readfirstlane_b32 s18, v2
	v_readfirstlane_b32 s19, v3
	s_mov_b64 s[20:21], exec
	s_waitcnt vmcnt(1)
	v_readfirstlane_b32 s26, v28
	v_readfirstlane_b32 s27, v29
	s_and_b64 s[26:27], s[18:19], s[26:27]
	s_mul_i32 s7, s27, 24
	s_mul_hi_u32 s28, s26, 24
	s_add_i32 s29, s28, s7
	s_mul_i32 s28, s26, 24
	s_waitcnt vmcnt(0)
	v_lshl_add_u64 v[28:29], v[22:23], 0, s[28:29]
	s_and_saveexec_b64 s[28:29], s[0:1]
	s_cbranch_execz .LBB4_216
; %bb.215:                              ;   in Loop: Header=BB4_153 Depth=1
	v_mov_b64_e32 v[2:3], s[20:21]
	global_store_dwordx4 v[28:29], v[2:5], off offset:8
.LBB4_216:                              ;   in Loop: Header=BB4_153 Depth=1
	s_or_b64 exec, exec, s[28:29]
	s_lshl_b64 s[20:21], s[26:27], 12
	v_lshl_add_u64 v[2:3], v[24:25], 0, s[20:21]
	v_or_b32_e32 v24, 2, v6
	v_cmp_gt_u64_e64 vcc, s[14:15], 56
	s_lshl_b32 s7, s16, 2
	s_add_i32 s7, s7, 28
	v_cndmask_b32_e32 v6, v24, v6, vcc
	s_and_b32 s7, s7, 0x1e0
	v_and_b32_e32 v6, 0xffffff1f, v6
	v_or_b32_e32 v6, s7, v6
	v_readfirstlane_b32 s20, v2
	v_readfirstlane_b32 s21, v3
	s_nop 4
	global_store_dwordx4 v38, v[6:9], s[20:21]
	global_store_dwordx4 v38, v[10:13], s[20:21] offset:16
	global_store_dwordx4 v38, v[14:17], s[20:21] offset:32
	;; [unrolled: 1-line block ×3, first 2 shown]
	s_and_saveexec_b64 s[20:21], s[0:1]
	s_cbranch_execz .LBB4_224
; %bb.217:                              ;   in Loop: Header=BB4_153 Depth=1
	global_load_dwordx2 v[14:15], v27, s[24:25] offset:32 sc0 sc1
	global_load_dwordx2 v[6:7], v27, s[24:25] offset:40
	v_mov_b32_e32 v12, s18
	v_mov_b32_e32 v13, s19
	s_waitcnt vmcnt(0)
	v_readfirstlane_b32 s26, v6
	v_readfirstlane_b32 s27, v7
	s_and_b64 s[26:27], s[26:27], s[18:19]
	s_mul_i32 s7, s27, 24
	s_mul_hi_u32 s27, s26, 24
	s_mul_i32 s26, s26, 24
	s_add_i32 s27, s27, s7
	v_lshl_add_u64 v[10:11], v[22:23], 0, s[26:27]
	global_store_dwordx2 v[10:11], v[14:15], off
	buffer_wbl2 sc0 sc1
	s_waitcnt vmcnt(0)
	global_atomic_cmpswap_x2 v[8:9], v27, v[12:15], s[24:25] offset:32 sc0 sc1
	s_waitcnt vmcnt(0)
	v_cmp_ne_u64_e32 vcc, v[8:9], v[14:15]
	s_and_saveexec_b64 s[26:27], vcc
	s_cbranch_execz .LBB4_220
; %bb.218:                              ;   in Loop: Header=BB4_153 Depth=1
	s_mov_b64 s[28:29], 0
.LBB4_219:                              ;   Parent Loop BB4_153 Depth=1
                                        ; =>  This Inner Loop Header: Depth=2
	s_sleep 1
	global_store_dwordx2 v[10:11], v[8:9], off
	v_mov_b32_e32 v6, s18
	v_mov_b32_e32 v7, s19
	buffer_wbl2 sc0 sc1
	s_waitcnt vmcnt(0)
	global_atomic_cmpswap_x2 v[6:7], v27, v[6:9], s[24:25] offset:32 sc0 sc1
	s_waitcnt vmcnt(0)
	v_cmp_eq_u64_e32 vcc, v[6:7], v[8:9]
	s_or_b64 s[28:29], vcc, s[28:29]
	v_mov_b64_e32 v[8:9], v[6:7]
	s_andn2_b64 exec, exec, s[28:29]
	s_cbranch_execnz .LBB4_219
.LBB4_220:                              ;   in Loop: Header=BB4_153 Depth=1
	s_or_b64 exec, exec, s[26:27]
	global_load_dwordx2 v[6:7], v27, s[24:25] offset:16
	s_mov_b64 s[28:29], exec
	v_mbcnt_lo_u32_b32 v8, s28, 0
	v_mbcnt_hi_u32_b32 v8, s29, v8
	v_cmp_eq_u32_e32 vcc, 0, v8
	s_and_saveexec_b64 s[26:27], vcc
	s_cbranch_execz .LBB4_222
; %bb.221:                              ;   in Loop: Header=BB4_153 Depth=1
	s_bcnt1_i32_b64 s7, s[28:29]
	v_mov_b32_e32 v26, s7
	buffer_wbl2 sc0 sc1
	s_waitcnt vmcnt(0)
	global_atomic_add_x2 v[6:7], v[26:27], off offset:8 sc1
.LBB4_222:                              ;   in Loop: Header=BB4_153 Depth=1
	s_or_b64 exec, exec, s[26:27]
	s_waitcnt vmcnt(0)
	global_load_dwordx2 v[8:9], v[6:7], off offset:16
	s_waitcnt vmcnt(0)
	v_cmp_eq_u64_e32 vcc, 0, v[8:9]
	s_cbranch_vccnz .LBB4_224
; %bb.223:                              ;   in Loop: Header=BB4_153 Depth=1
	global_load_dword v26, v[6:7], off offset:24
	s_waitcnt vmcnt(0)
	v_and_b32_e32 v6, 0xffffff, v26
	s_nop 0
	v_readfirstlane_b32 m0, v6
	buffer_wbl2 sc0 sc1
	global_store_dwordx2 v[8:9], v[26:27], off sc0 sc1
	s_sendmsg sendmsg(MSG_INTERRUPT)
.LBB4_224:                              ;   in Loop: Header=BB4_153 Depth=1
	s_or_b64 exec, exec, s[20:21]
	v_mov_b32_e32 v39, v27
	v_lshl_add_u64 v[2:3], v[2:3], 0, v[38:39]
	s_branch .LBB4_228
.LBB4_225:                              ;   in Loop: Header=BB4_228 Depth=2
	s_or_b64 exec, exec, s[20:21]
	v_readfirstlane_b32 s7, v6
	s_cmp_eq_u32 s7, 0
	s_cbranch_scc1 .LBB4_227
; %bb.226:                              ;   in Loop: Header=BB4_228 Depth=2
	s_sleep 1
	s_cbranch_execnz .LBB4_228
	s_branch .LBB4_230
.LBB4_227:                              ;   in Loop: Header=BB4_153 Depth=1
	s_branch .LBB4_230
.LBB4_228:                              ;   Parent Loop BB4_153 Depth=1
                                        ; =>  This Inner Loop Header: Depth=2
	v_mov_b32_e32 v6, 1
	s_and_saveexec_b64 s[20:21], s[0:1]
	s_cbranch_execz .LBB4_225
; %bb.229:                              ;   in Loop: Header=BB4_228 Depth=2
	global_load_dword v6, v[28:29], off offset:20 sc0 sc1
	s_waitcnt vmcnt(0)
	buffer_inv sc0 sc1
	v_and_b32_e32 v6, 1, v6
	s_branch .LBB4_225
.LBB4_230:                              ;   in Loop: Header=BB4_153 Depth=1
	global_load_dwordx4 v[6:9], v[2:3], off
	s_and_saveexec_b64 s[20:21], s[0:1]
	s_cbranch_execz .LBB4_152
; %bb.231:                              ;   in Loop: Header=BB4_153 Depth=1
	global_load_dwordx2 v[2:3], v27, s[24:25] offset:40
	global_load_dwordx2 v[12:13], v27, s[24:25] offset:24 sc0 sc1
	global_load_dwordx2 v[14:15], v27, s[24:25]
	s_waitcnt vmcnt(2)
	v_lshl_add_u64 v[8:9], v[2:3], 0, 1
	v_lshl_add_u64 v[16:17], v[8:9], 0, s[18:19]
	v_cmp_eq_u64_e32 vcc, 0, v[16:17]
	s_waitcnt vmcnt(1)
	v_mov_b32_e32 v10, v12
	v_cndmask_b32_e32 v9, v17, v9, vcc
	v_cndmask_b32_e32 v8, v16, v8, vcc
	v_and_b32_e32 v3, v9, v3
	v_and_b32_e32 v2, v8, v2
	v_mul_lo_u32 v3, v3, 24
	v_mul_hi_u32 v11, v2, 24
	v_mul_lo_u32 v2, v2, 24
	v_add_u32_e32 v3, v11, v3
	s_waitcnt vmcnt(0)
	v_lshl_add_u64 v[2:3], v[14:15], 0, v[2:3]
	global_store_dwordx2 v[2:3], v[12:13], off
	v_mov_b32_e32 v11, v13
	buffer_wbl2 sc0 sc1
	s_waitcnt vmcnt(0)
	global_atomic_cmpswap_x2 v[10:11], v27, v[8:11], s[24:25] offset:24 sc0 sc1
	s_waitcnt vmcnt(0)
	v_cmp_ne_u64_e32 vcc, v[10:11], v[12:13]
	s_and_b64 exec, exec, vcc
	s_cbranch_execz .LBB4_152
; %bb.232:                              ;   in Loop: Header=BB4_153 Depth=1
	s_mov_b64 s[0:1], 0
.LBB4_233:                              ;   Parent Loop BB4_153 Depth=1
                                        ; =>  This Inner Loop Header: Depth=2
	s_sleep 1
	global_store_dwordx2 v[2:3], v[10:11], off
	buffer_wbl2 sc0 sc1
	s_waitcnt vmcnt(0)
	global_atomic_cmpswap_x2 v[12:13], v27, v[8:11], s[24:25] offset:24 sc0 sc1
	s_waitcnt vmcnt(0)
	v_cmp_eq_u64_e32 vcc, v[12:13], v[10:11]
	s_or_b64 s[0:1], vcc, s[0:1]
	v_mov_b64_e32 v[10:11], v[12:13]
	s_andn2_b64 exec, exec, s[0:1]
	s_cbranch_execnz .LBB4_233
	s_branch .LBB4_152
.LBB4_234:
	s_branch .LBB4_262
.LBB4_235:
	s_cbranch_execz .LBB4_262
; %bb.236:
	v_readfirstlane_b32 s0, v37
	s_waitcnt vmcnt(0)
	v_mov_b64_e32 v[8:9], 0
	v_cmp_eq_u32_e64 s[0:1], s0, v37
	s_and_saveexec_b64 s[12:13], s[0:1]
	s_cbranch_execz .LBB4_242
; %bb.237:
	v_mov_b32_e32 v2, 0
	global_load_dwordx2 v[6:7], v2, s[24:25] offset:24 sc0 sc1
	s_waitcnt vmcnt(0)
	buffer_inv sc0 sc1
	global_load_dwordx2 v[4:5], v2, s[24:25] offset:40
	global_load_dwordx2 v[8:9], v2, s[24:25]
	s_waitcnt vmcnt(1)
	v_and_b32_e32 v3, v4, v6
	v_and_b32_e32 v4, v5, v7
	v_mul_lo_u32 v4, v4, 24
	v_mul_hi_u32 v5, v3, 24
	v_add_u32_e32 v5, v5, v4
	v_mul_lo_u32 v4, v3, 24
	s_waitcnt vmcnt(0)
	v_lshl_add_u64 v[4:5], v[8:9], 0, v[4:5]
	global_load_dwordx2 v[4:5], v[4:5], off sc0 sc1
	s_waitcnt vmcnt(0)
	global_atomic_cmpswap_x2 v[8:9], v2, v[4:7], s[24:25] offset:24 sc0 sc1
	s_waitcnt vmcnt(0)
	buffer_inv sc0 sc1
	v_cmp_ne_u64_e32 vcc, v[8:9], v[6:7]
	s_and_saveexec_b64 s[14:15], vcc
	s_cbranch_execz .LBB4_241
; %bb.238:
	s_mov_b64 s[16:17], 0
.LBB4_239:                              ; =>This Inner Loop Header: Depth=1
	s_sleep 1
	global_load_dwordx2 v[4:5], v2, s[24:25] offset:40
	global_load_dwordx2 v[10:11], v2, s[24:25]
	v_mov_b64_e32 v[6:7], v[8:9]
	s_waitcnt vmcnt(1)
	v_and_b32_e32 v4, v4, v6
	v_and_b32_e32 v3, v5, v7
	s_waitcnt vmcnt(0)
	v_mad_u64_u32 v[4:5], s[18:19], v4, 24, v[10:11]
	v_mov_b32_e32 v8, v5
	v_mad_u64_u32 v[8:9], s[18:19], v3, 24, v[8:9]
	v_mov_b32_e32 v5, v8
	global_load_dwordx2 v[4:5], v[4:5], off sc0 sc1
	s_waitcnt vmcnt(0)
	global_atomic_cmpswap_x2 v[8:9], v2, v[4:7], s[24:25] offset:24 sc0 sc1
	s_waitcnt vmcnt(0)
	buffer_inv sc0 sc1
	v_cmp_eq_u64_e32 vcc, v[8:9], v[6:7]
	s_or_b64 s[16:17], vcc, s[16:17]
	s_andn2_b64 exec, exec, s[16:17]
	s_cbranch_execnz .LBB4_239
; %bb.240:
	s_or_b64 exec, exec, s[16:17]
.LBB4_241:
	s_or_b64 exec, exec, s[14:15]
.LBB4_242:
	s_or_b64 exec, exec, s[12:13]
	v_mov_b32_e32 v2, 0
	global_load_dwordx2 v[10:11], v2, s[24:25] offset:40
	global_load_dwordx4 v[4:7], v2, s[24:25]
	v_readfirstlane_b32 s12, v8
	v_readfirstlane_b32 s13, v9
	s_mov_b64 s[14:15], exec
	s_waitcnt vmcnt(1)
	v_readfirstlane_b32 s16, v10
	v_readfirstlane_b32 s17, v11
	s_and_b64 s[16:17], s[12:13], s[16:17]
	s_mul_i32 s7, s17, 24
	s_mul_hi_u32 s18, s16, 24
	s_add_i32 s19, s18, s7
	s_mul_i32 s18, s16, 24
	s_waitcnt vmcnt(0)
	v_lshl_add_u64 v[8:9], v[4:5], 0, s[18:19]
	s_and_saveexec_b64 s[18:19], s[0:1]
	s_cbranch_execz .LBB4_244
; %bb.243:
	v_mov_b64_e32 v[10:11], s[14:15]
	v_mov_b32_e32 v12, 2
	v_mov_b32_e32 v13, 1
	global_store_dwordx4 v[8:9], v[10:13], off offset:8
.LBB4_244:
	s_or_b64 exec, exec, s[18:19]
	s_lshl_b64 s[14:15], s[16:17], 12
	v_lshl_add_u64 v[6:7], v[6:7], 0, s[14:15]
	s_movk_i32 s7, 0xff1d
	s_mov_b32 s16, 0
	v_and_or_b32 v0, v0, s7, 34
	v_mov_b32_e32 v3, v2
	v_readfirstlane_b32 s14, v6
	v_readfirstlane_b32 s15, v7
	s_mov_b32 s17, s16
	s_mov_b32 s18, s16
	;; [unrolled: 1-line block ×3, first 2 shown]
	s_nop 1
	global_store_dwordx4 v38, v[0:3], s[14:15]
	s_nop 1
	v_mov_b64_e32 v[0:1], s[16:17]
	v_mov_b64_e32 v[2:3], s[18:19]
	global_store_dwordx4 v38, v[0:3], s[14:15] offset:16
	global_store_dwordx4 v38, v[0:3], s[14:15] offset:32
	;; [unrolled: 1-line block ×3, first 2 shown]
	s_and_saveexec_b64 s[14:15], s[0:1]
	s_cbranch_execz .LBB4_252
; %bb.245:
	v_mov_b32_e32 v6, 0
	global_load_dwordx2 v[12:13], v6, s[24:25] offset:32 sc0 sc1
	global_load_dwordx2 v[0:1], v6, s[24:25] offset:40
	v_mov_b32_e32 v10, s12
	v_mov_b32_e32 v11, s13
	s_waitcnt vmcnt(0)
	v_readfirstlane_b32 s16, v0
	v_readfirstlane_b32 s17, v1
	s_and_b64 s[16:17], s[16:17], s[12:13]
	s_mul_i32 s7, s17, 24
	s_mul_hi_u32 s17, s16, 24
	s_mul_i32 s16, s16, 24
	s_add_i32 s17, s17, s7
	v_lshl_add_u64 v[4:5], v[4:5], 0, s[16:17]
	global_store_dwordx2 v[4:5], v[12:13], off
	buffer_wbl2 sc0 sc1
	s_waitcnt vmcnt(0)
	global_atomic_cmpswap_x2 v[2:3], v6, v[10:13], s[24:25] offset:32 sc0 sc1
	s_waitcnt vmcnt(0)
	v_cmp_ne_u64_e32 vcc, v[2:3], v[12:13]
	s_and_saveexec_b64 s[16:17], vcc
	s_cbranch_execz .LBB4_248
; %bb.246:
	s_mov_b64 s[18:19], 0
.LBB4_247:                              ; =>This Inner Loop Header: Depth=1
	s_sleep 1
	global_store_dwordx2 v[4:5], v[2:3], off
	v_mov_b32_e32 v0, s12
	v_mov_b32_e32 v1, s13
	buffer_wbl2 sc0 sc1
	s_waitcnt vmcnt(0)
	global_atomic_cmpswap_x2 v[0:1], v6, v[0:3], s[24:25] offset:32 sc0 sc1
	s_waitcnt vmcnt(0)
	v_cmp_eq_u64_e32 vcc, v[0:1], v[2:3]
	s_or_b64 s[18:19], vcc, s[18:19]
	v_mov_b64_e32 v[2:3], v[0:1]
	s_andn2_b64 exec, exec, s[18:19]
	s_cbranch_execnz .LBB4_247
.LBB4_248:
	s_or_b64 exec, exec, s[16:17]
	v_mov_b32_e32 v3, 0
	global_load_dwordx2 v[0:1], v3, s[24:25] offset:16
	s_mov_b64 s[16:17], exec
	v_mbcnt_lo_u32_b32 v2, s16, 0
	v_mbcnt_hi_u32_b32 v2, s17, v2
	v_cmp_eq_u32_e32 vcc, 0, v2
	s_and_saveexec_b64 s[18:19], vcc
	s_cbranch_execz .LBB4_250
; %bb.249:
	s_bcnt1_i32_b64 s7, s[16:17]
	v_mov_b32_e32 v2, s7
	buffer_wbl2 sc0 sc1
	s_waitcnt vmcnt(0)
	global_atomic_add_x2 v[0:1], v[2:3], off offset:8 sc1
.LBB4_250:
	s_or_b64 exec, exec, s[18:19]
	s_waitcnt vmcnt(0)
	global_load_dwordx2 v[2:3], v[0:1], off offset:16
	s_waitcnt vmcnt(0)
	v_cmp_eq_u64_e32 vcc, 0, v[2:3]
	s_cbranch_vccnz .LBB4_252
; %bb.251:
	global_load_dword v0, v[0:1], off offset:24
	v_mov_b32_e32 v1, 0
	buffer_wbl2 sc0 sc1
	s_waitcnt vmcnt(0)
	global_store_dwordx2 v[2:3], v[0:1], off sc0 sc1
	v_and_b32_e32 v0, 0xffffff, v0
	s_nop 0
	v_readfirstlane_b32 m0, v0
	s_sendmsg sendmsg(MSG_INTERRUPT)
.LBB4_252:
	s_or_b64 exec, exec, s[14:15]
	s_branch .LBB4_256
.LBB4_253:                              ;   in Loop: Header=BB4_256 Depth=1
	s_or_b64 exec, exec, s[14:15]
	v_readfirstlane_b32 s7, v0
	s_cmp_eq_u32 s7, 0
	s_cbranch_scc1 .LBB4_255
; %bb.254:                              ;   in Loop: Header=BB4_256 Depth=1
	s_sleep 1
	s_cbranch_execnz .LBB4_256
	s_branch .LBB4_258
.LBB4_255:
	s_branch .LBB4_258
.LBB4_256:                              ; =>This Inner Loop Header: Depth=1
	v_mov_b32_e32 v0, 1
	s_and_saveexec_b64 s[14:15], s[0:1]
	s_cbranch_execz .LBB4_253
; %bb.257:                              ;   in Loop: Header=BB4_256 Depth=1
	global_load_dword v0, v[8:9], off offset:20 sc0 sc1
	s_waitcnt vmcnt(0)
	buffer_inv sc0 sc1
	v_and_b32_e32 v0, 1, v0
	s_branch .LBB4_253
.LBB4_258:
	s_and_saveexec_b64 s[14:15], s[0:1]
	s_cbranch_execz .LBB4_261
; %bb.259:
	v_mov_b32_e32 v6, 0
	global_load_dwordx2 v[4:5], v6, s[24:25] offset:40
	global_load_dwordx2 v[8:9], v6, s[24:25] offset:24 sc0 sc1
	global_load_dwordx2 v[10:11], v6, s[24:25]
	s_mov_b64 s[0:1], 0
	s_waitcnt vmcnt(2)
	v_lshl_add_u64 v[0:1], v[4:5], 0, 1
	v_lshl_add_u64 v[12:13], v[0:1], 0, s[12:13]
	v_cmp_eq_u64_e32 vcc, 0, v[12:13]
	s_waitcnt vmcnt(1)
	v_mov_b32_e32 v2, v8
	v_cndmask_b32_e32 v1, v13, v1, vcc
	v_cndmask_b32_e32 v0, v12, v0, vcc
	v_and_b32_e32 v3, v1, v5
	v_and_b32_e32 v4, v0, v4
	v_mul_lo_u32 v3, v3, 24
	v_mul_hi_u32 v5, v4, 24
	v_mul_lo_u32 v4, v4, 24
	v_add_u32_e32 v5, v5, v3
	s_waitcnt vmcnt(0)
	v_lshl_add_u64 v[4:5], v[10:11], 0, v[4:5]
	global_store_dwordx2 v[4:5], v[8:9], off
	v_mov_b32_e32 v3, v9
	buffer_wbl2 sc0 sc1
	s_waitcnt vmcnt(0)
	global_atomic_cmpswap_x2 v[2:3], v6, v[0:3], s[24:25] offset:24 sc0 sc1
	s_waitcnt vmcnt(0)
	v_cmp_ne_u64_e32 vcc, v[2:3], v[8:9]
	s_and_b64 exec, exec, vcc
	s_cbranch_execz .LBB4_261
.LBB4_260:                              ; =>This Inner Loop Header: Depth=1
	s_sleep 1
	global_store_dwordx2 v[4:5], v[2:3], off
	buffer_wbl2 sc0 sc1
	s_waitcnt vmcnt(0)
	global_atomic_cmpswap_x2 v[8:9], v6, v[0:3], s[24:25] offset:24 sc0 sc1
	s_waitcnt vmcnt(0)
	v_cmp_eq_u64_e32 vcc, v[8:9], v[2:3]
	s_or_b64 s[0:1], vcc, s[0:1]
	v_mov_b64_e32 v[2:3], v[8:9]
	s_andn2_b64 exec, exec, s[0:1]
	s_cbranch_execnz .LBB4_260
.LBB4_261:
	s_or_b64 exec, exec, s[14:15]
.LBB4_262:
	v_readfirstlane_b32 s0, v37
	s_waitcnt vmcnt(0)
	v_mov_b64_e32 v[4:5], 0
	v_cmp_eq_u32_e64 s[0:1], s0, v37
	s_and_saveexec_b64 s[12:13], s[0:1]
	s_cbranch_execz .LBB4_268
; %bb.263:
	v_mov_b32_e32 v0, 0
	global_load_dwordx2 v[6:7], v0, s[24:25] offset:24 sc0 sc1
	s_waitcnt vmcnt(0)
	buffer_inv sc0 sc1
	global_load_dwordx2 v[2:3], v0, s[24:25] offset:40
	global_load_dwordx2 v[4:5], v0, s[24:25]
	s_waitcnt vmcnt(1)
	v_and_b32_e32 v1, v2, v6
	v_and_b32_e32 v2, v3, v7
	v_mul_lo_u32 v2, v2, 24
	v_mul_hi_u32 v3, v1, 24
	v_add_u32_e32 v3, v3, v2
	v_mul_lo_u32 v2, v1, 24
	s_waitcnt vmcnt(0)
	v_lshl_add_u64 v[2:3], v[4:5], 0, v[2:3]
	global_load_dwordx2 v[4:5], v[2:3], off sc0 sc1
	s_waitcnt vmcnt(0)
	global_atomic_cmpswap_x2 v[4:5], v0, v[4:7], s[24:25] offset:24 sc0 sc1
	s_waitcnt vmcnt(0)
	buffer_inv sc0 sc1
	v_cmp_ne_u64_e32 vcc, v[4:5], v[6:7]
	s_and_saveexec_b64 s[14:15], vcc
	s_cbranch_execz .LBB4_267
; %bb.264:
	s_mov_b64 s[16:17], 0
.LBB4_265:                              ; =>This Inner Loop Header: Depth=1
	s_sleep 1
	global_load_dwordx2 v[2:3], v0, s[24:25] offset:40
	global_load_dwordx2 v[8:9], v0, s[24:25]
	v_mov_b64_e32 v[6:7], v[4:5]
	s_waitcnt vmcnt(1)
	v_and_b32_e32 v2, v2, v6
	v_and_b32_e32 v1, v3, v7
	s_waitcnt vmcnt(0)
	v_mad_u64_u32 v[2:3], s[18:19], v2, 24, v[8:9]
	v_mov_b32_e32 v4, v3
	v_mad_u64_u32 v[4:5], s[18:19], v1, 24, v[4:5]
	v_mov_b32_e32 v3, v4
	global_load_dwordx2 v[4:5], v[2:3], off sc0 sc1
	s_waitcnt vmcnt(0)
	global_atomic_cmpswap_x2 v[4:5], v0, v[4:7], s[24:25] offset:24 sc0 sc1
	s_waitcnt vmcnt(0)
	buffer_inv sc0 sc1
	v_cmp_eq_u64_e32 vcc, v[4:5], v[6:7]
	s_or_b64 s[16:17], vcc, s[16:17]
	s_andn2_b64 exec, exec, s[16:17]
	s_cbranch_execnz .LBB4_265
; %bb.266:
	s_or_b64 exec, exec, s[16:17]
.LBB4_267:
	s_or_b64 exec, exec, s[14:15]
.LBB4_268:
	s_or_b64 exec, exec, s[12:13]
	v_mov_b32_e32 v39, 0
	global_load_dwordx2 v[6:7], v39, s[24:25] offset:40
	global_load_dwordx4 v[0:3], v39, s[24:25]
	v_readfirstlane_b32 s12, v4
	v_readfirstlane_b32 s13, v5
	s_mov_b64 s[14:15], exec
	s_waitcnt vmcnt(1)
	v_readfirstlane_b32 s16, v6
	v_readfirstlane_b32 s17, v7
	s_and_b64 s[16:17], s[12:13], s[16:17]
	s_mul_i32 s7, s17, 24
	s_mul_hi_u32 s18, s16, 24
	s_add_i32 s19, s18, s7
	s_mul_i32 s18, s16, 24
	s_waitcnt vmcnt(0)
	v_lshl_add_u64 v[4:5], v[0:1], 0, s[18:19]
	s_and_saveexec_b64 s[18:19], s[0:1]
	s_cbranch_execz .LBB4_270
; %bb.269:
	v_mov_b64_e32 v[6:7], s[14:15]
	v_mov_b32_e32 v8, 2
	v_mov_b32_e32 v9, 1
	global_store_dwordx4 v[4:5], v[6:9], off offset:8
.LBB4_270:
	s_or_b64 exec, exec, s[18:19]
	s_lshl_b64 s[14:15], s[16:17], 12
	v_lshl_add_u64 v[6:7], v[2:3], 0, s[14:15]
	s_mov_b32 s16, 0
	v_mov_b32_e32 v8, 33
	v_mov_b32_e32 v9, v39
	;; [unrolled: 1-line block ×4, first 2 shown]
	v_readfirstlane_b32 s14, v6
	v_readfirstlane_b32 s15, v7
	s_mov_b32 s17, s16
	s_mov_b32 s18, s16
	;; [unrolled: 1-line block ×3, first 2 shown]
	s_nop 1
	global_store_dwordx4 v38, v[8:11], s[14:15]
	s_nop 1
	v_mov_b64_e32 v[8:9], s[16:17]
	v_mov_b64_e32 v[10:11], s[18:19]
	global_store_dwordx4 v38, v[8:11], s[14:15] offset:16
	global_store_dwordx4 v38, v[8:11], s[14:15] offset:32
	;; [unrolled: 1-line block ×3, first 2 shown]
	s_and_saveexec_b64 s[14:15], s[0:1]
	s_cbranch_execz .LBB4_278
; %bb.271:
	v_mov_b32_e32 v10, 0
	global_load_dwordx2 v[14:15], v10, s[24:25] offset:32 sc0 sc1
	global_load_dwordx2 v[2:3], v10, s[24:25] offset:40
	v_mov_b32_e32 v12, s12
	v_mov_b32_e32 v13, s13
	s_waitcnt vmcnt(0)
	v_readfirstlane_b32 s16, v2
	v_readfirstlane_b32 s17, v3
	s_and_b64 s[16:17], s[16:17], s[12:13]
	s_mul_i32 s7, s17, 24
	s_mul_hi_u32 s17, s16, 24
	s_mul_i32 s16, s16, 24
	s_add_i32 s17, s17, s7
	v_lshl_add_u64 v[8:9], v[0:1], 0, s[16:17]
	global_store_dwordx2 v[8:9], v[14:15], off
	buffer_wbl2 sc0 sc1
	s_waitcnt vmcnt(0)
	global_atomic_cmpswap_x2 v[2:3], v10, v[12:15], s[24:25] offset:32 sc0 sc1
	s_waitcnt vmcnt(0)
	v_cmp_ne_u64_e32 vcc, v[2:3], v[14:15]
	s_and_saveexec_b64 s[16:17], vcc
	s_cbranch_execz .LBB4_274
; %bb.272:
	s_mov_b64 s[18:19], 0
.LBB4_273:                              ; =>This Inner Loop Header: Depth=1
	s_sleep 1
	global_store_dwordx2 v[8:9], v[2:3], off
	v_mov_b32_e32 v0, s12
	v_mov_b32_e32 v1, s13
	buffer_wbl2 sc0 sc1
	s_waitcnt vmcnt(0)
	global_atomic_cmpswap_x2 v[0:1], v10, v[0:3], s[24:25] offset:32 sc0 sc1
	s_waitcnt vmcnt(0)
	v_cmp_eq_u64_e32 vcc, v[0:1], v[2:3]
	s_or_b64 s[18:19], vcc, s[18:19]
	v_mov_b64_e32 v[2:3], v[0:1]
	s_andn2_b64 exec, exec, s[18:19]
	s_cbranch_execnz .LBB4_273
.LBB4_274:
	s_or_b64 exec, exec, s[16:17]
	v_mov_b32_e32 v3, 0
	global_load_dwordx2 v[0:1], v3, s[24:25] offset:16
	s_mov_b64 s[16:17], exec
	v_mbcnt_lo_u32_b32 v2, s16, 0
	v_mbcnt_hi_u32_b32 v2, s17, v2
	v_cmp_eq_u32_e32 vcc, 0, v2
	s_and_saveexec_b64 s[18:19], vcc
	s_cbranch_execz .LBB4_276
; %bb.275:
	s_bcnt1_i32_b64 s7, s[16:17]
	v_mov_b32_e32 v2, s7
	buffer_wbl2 sc0 sc1
	s_waitcnt vmcnt(0)
	global_atomic_add_x2 v[0:1], v[2:3], off offset:8 sc1
.LBB4_276:
	s_or_b64 exec, exec, s[18:19]
	s_waitcnt vmcnt(0)
	global_load_dwordx2 v[2:3], v[0:1], off offset:16
	s_waitcnt vmcnt(0)
	v_cmp_eq_u64_e32 vcc, 0, v[2:3]
	s_cbranch_vccnz .LBB4_278
; %bb.277:
	global_load_dword v0, v[0:1], off offset:24
	v_mov_b32_e32 v1, 0
	buffer_wbl2 sc0 sc1
	s_waitcnt vmcnt(0)
	global_store_dwordx2 v[2:3], v[0:1], off sc0 sc1
	v_and_b32_e32 v0, 0xffffff, v0
	s_nop 0
	v_readfirstlane_b32 m0, v0
	s_sendmsg sendmsg(MSG_INTERRUPT)
.LBB4_278:
	s_or_b64 exec, exec, s[14:15]
	v_lshl_add_u64 v[0:1], v[6:7], 0, v[38:39]
	s_branch .LBB4_282
.LBB4_279:                              ;   in Loop: Header=BB4_282 Depth=1
	s_or_b64 exec, exec, s[14:15]
	v_readfirstlane_b32 s7, v2
	s_cmp_eq_u32 s7, 0
	s_cbranch_scc1 .LBB4_281
; %bb.280:                              ;   in Loop: Header=BB4_282 Depth=1
	s_sleep 1
	s_cbranch_execnz .LBB4_282
	s_branch .LBB4_284
.LBB4_281:
	s_branch .LBB4_284
.LBB4_282:                              ; =>This Inner Loop Header: Depth=1
	v_mov_b32_e32 v2, 1
	s_and_saveexec_b64 s[14:15], s[0:1]
	s_cbranch_execz .LBB4_279
; %bb.283:                              ;   in Loop: Header=BB4_282 Depth=1
	global_load_dword v2, v[4:5], off offset:20 sc0 sc1
	s_waitcnt vmcnt(0)
	buffer_inv sc0 sc1
	v_and_b32_e32 v2, 1, v2
	s_branch .LBB4_279
.LBB4_284:
	global_load_dwordx2 v[0:1], v[0:1], off
	s_and_saveexec_b64 s[14:15], s[0:1]
	s_cbranch_execz .LBB4_287
; %bb.285:
	v_mov_b32_e32 v8, 0
	global_load_dwordx2 v[6:7], v8, s[24:25] offset:40
	global_load_dwordx2 v[10:11], v8, s[24:25] offset:24 sc0 sc1
	global_load_dwordx2 v[12:13], v8, s[24:25]
	s_mov_b64 s[0:1], 0
	s_waitcnt vmcnt(2)
	v_lshl_add_u64 v[2:3], v[6:7], 0, 1
	v_lshl_add_u64 v[14:15], v[2:3], 0, s[12:13]
	v_cmp_eq_u64_e32 vcc, 0, v[14:15]
	s_waitcnt vmcnt(1)
	v_mov_b32_e32 v4, v10
	v_cndmask_b32_e32 v3, v15, v3, vcc
	v_cndmask_b32_e32 v2, v14, v2, vcc
	v_and_b32_e32 v5, v3, v7
	v_and_b32_e32 v6, v2, v6
	v_mul_lo_u32 v5, v5, 24
	v_mul_hi_u32 v7, v6, 24
	v_mul_lo_u32 v6, v6, 24
	v_add_u32_e32 v7, v7, v5
	s_waitcnt vmcnt(0)
	v_lshl_add_u64 v[6:7], v[12:13], 0, v[6:7]
	global_store_dwordx2 v[6:7], v[10:11], off
	v_mov_b32_e32 v5, v11
	buffer_wbl2 sc0 sc1
	s_waitcnt vmcnt(0)
	global_atomic_cmpswap_x2 v[4:5], v8, v[2:5], s[24:25] offset:24 sc0 sc1
	s_waitcnt vmcnt(0)
	v_cmp_ne_u64_e32 vcc, v[4:5], v[10:11]
	s_and_b64 exec, exec, vcc
	s_cbranch_execz .LBB4_287
.LBB4_286:                              ; =>This Inner Loop Header: Depth=1
	s_sleep 1
	global_store_dwordx2 v[6:7], v[4:5], off
	buffer_wbl2 sc0 sc1
	s_waitcnt vmcnt(0)
	global_atomic_cmpswap_x2 v[10:11], v8, v[2:5], s[24:25] offset:24 sc0 sc1
	s_waitcnt vmcnt(0)
	v_cmp_eq_u64_e32 vcc, v[10:11], v[4:5]
	s_or_b64 s[0:1], vcc, s[0:1]
	v_mov_b64_e32 v[4:5], v[10:11]
	s_andn2_b64 exec, exec, s[0:1]
	s_cbranch_execnz .LBB4_286
.LBB4_287:
	s_or_b64 exec, exec, s[14:15]
	s_getpc_b64 s[12:13]
	s_add_u32 s12, s12, .str.6@rel32@lo+4
	s_addc_u32 s13, s13, .str.6@rel32@hi+12
	s_cmp_lg_u64 s[12:13], 0
	s_cselect_b64 s[26:27], -1, 0
	s_and_b64 vcc, exec, s[26:27]
	s_cbranch_vccz .LBB4_372
; %bb.288:
	s_waitcnt vmcnt(0)
	v_and_b32_e32 v28, 2, v0
	v_mov_b32_e32 v31, 0
	v_and_b32_e32 v2, -3, v0
	v_mov_b32_e32 v3, v1
	s_mov_b64 s[14:15], 3
	v_mov_b32_e32 v6, 2
	v_mov_b32_e32 v7, 1
	s_branch .LBB4_290
.LBB4_289:                              ;   in Loop: Header=BB4_290 Depth=1
	s_or_b64 exec, exec, s[20:21]
	s_sub_u32 s14, s14, s16
	s_subb_u32 s15, s15, s17
	s_add_u32 s12, s12, s16
	s_addc_u32 s13, s13, s17
	s_cmp_lg_u64 s[14:15], 0
	s_cbranch_scc0 .LBB4_371
.LBB4_290:                              ; =>This Loop Header: Depth=1
                                        ;     Child Loop BB4_293 Depth 2
                                        ;     Child Loop BB4_300 Depth 2
	;; [unrolled: 1-line block ×11, first 2 shown]
	v_cmp_lt_u64_e64 s[0:1], s[14:15], 56
	s_and_b64 s[0:1], s[0:1], exec
	v_cmp_gt_u64_e64 s[0:1], s[14:15], 7
	s_cselect_b32 s17, s15, 0
	s_cselect_b32 s16, s14, 56
	s_and_b64 vcc, exec, s[0:1]
	s_cbranch_vccnz .LBB4_295
; %bb.291:                              ;   in Loop: Header=BB4_290 Depth=1
	s_mov_b64 s[0:1], 0
	s_cmp_eq_u64 s[14:15], 0
	v_mov_b64_e32 v[10:11], 0
	s_cbranch_scc1 .LBB4_294
; %bb.292:                              ;   in Loop: Header=BB4_290 Depth=1
	s_lshl_b64 s[18:19], s[16:17], 3
	s_mov_b64 s[20:21], 0
	v_mov_b64_e32 v[10:11], 0
	s_mov_b64 s[28:29], s[12:13]
.LBB4_293:                              ;   Parent Loop BB4_290 Depth=1
                                        ; =>  This Inner Loop Header: Depth=2
	global_load_ubyte v4, v31, s[28:29]
	s_waitcnt vmcnt(0)
	v_and_b32_e32 v30, 0xffff, v4
	v_lshlrev_b64 v[4:5], s20, v[30:31]
	s_add_u32 s20, s20, 8
	s_addc_u32 s21, s21, 0
	s_add_u32 s28, s28, 1
	s_addc_u32 s29, s29, 0
	v_or_b32_e32 v10, v4, v10
	s_cmp_lg_u32 s18, s20
	v_or_b32_e32 v11, v5, v11
	s_cbranch_scc1 .LBB4_293
.LBB4_294:                              ;   in Loop: Header=BB4_290 Depth=1
	s_mov_b32 s7, 0
	s_andn2_b64 vcc, exec, s[0:1]
	s_mov_b64 s[0:1], s[12:13]
	s_cbranch_vccz .LBB4_296
	s_branch .LBB4_297
.LBB4_295:                              ;   in Loop: Header=BB4_290 Depth=1
                                        ; implicit-def: $vgpr10_vgpr11
                                        ; implicit-def: $sgpr7
	s_mov_b64 s[0:1], s[12:13]
.LBB4_296:                              ;   in Loop: Header=BB4_290 Depth=1
	global_load_dwordx2 v[10:11], v31, s[12:13]
	s_add_i32 s7, s16, -8
	s_add_u32 s0, s12, 8
	s_addc_u32 s1, s13, 0
.LBB4_297:                              ;   in Loop: Header=BB4_290 Depth=1
	s_cmp_gt_u32 s7, 7
	s_cbranch_scc1 .LBB4_301
; %bb.298:                              ;   in Loop: Header=BB4_290 Depth=1
	s_cmp_eq_u32 s7, 0
	s_cbranch_scc1 .LBB4_302
; %bb.299:                              ;   in Loop: Header=BB4_290 Depth=1
	s_mov_b64 s[18:19], 0
	v_mov_b64_e32 v[12:13], 0
	s_mov_b64 s[20:21], 0
.LBB4_300:                              ;   Parent Loop BB4_290 Depth=1
                                        ; =>  This Inner Loop Header: Depth=2
	s_add_u32 s28, s0, s20
	s_addc_u32 s29, s1, s21
	global_load_ubyte v4, v31, s[28:29]
	s_add_u32 s20, s20, 1
	s_addc_u32 s21, s21, 0
	s_waitcnt vmcnt(0)
	v_and_b32_e32 v30, 0xffff, v4
	v_lshlrev_b64 v[4:5], s18, v[30:31]
	s_add_u32 s18, s18, 8
	s_addc_u32 s19, s19, 0
	v_or_b32_e32 v12, v4, v12
	s_cmp_lg_u32 s7, s20
	v_or_b32_e32 v13, v5, v13
	s_cbranch_scc1 .LBB4_300
	s_branch .LBB4_303
.LBB4_301:                              ;   in Loop: Header=BB4_290 Depth=1
                                        ; implicit-def: $vgpr12_vgpr13
                                        ; implicit-def: $sgpr28
	s_branch .LBB4_304
.LBB4_302:                              ;   in Loop: Header=BB4_290 Depth=1
	v_mov_b64_e32 v[12:13], 0
.LBB4_303:                              ;   in Loop: Header=BB4_290 Depth=1
	s_mov_b32 s28, 0
	s_cbranch_execnz .LBB4_305
.LBB4_304:                              ;   in Loop: Header=BB4_290 Depth=1
	global_load_dwordx2 v[12:13], v31, s[0:1]
	s_add_i32 s28, s7, -8
	s_add_u32 s0, s0, 8
	s_addc_u32 s1, s1, 0
.LBB4_305:                              ;   in Loop: Header=BB4_290 Depth=1
	s_cmp_gt_u32 s28, 7
	s_cbranch_scc1 .LBB4_309
; %bb.306:                              ;   in Loop: Header=BB4_290 Depth=1
	s_cmp_eq_u32 s28, 0
	s_cbranch_scc1 .LBB4_310
; %bb.307:                              ;   in Loop: Header=BB4_290 Depth=1
	s_mov_b64 s[18:19], 0
	v_mov_b64_e32 v[14:15], 0
	s_mov_b64 s[20:21], 0
.LBB4_308:                              ;   Parent Loop BB4_290 Depth=1
                                        ; =>  This Inner Loop Header: Depth=2
	s_add_u32 s30, s0, s20
	s_addc_u32 s31, s1, s21
	global_load_ubyte v4, v31, s[30:31]
	s_add_u32 s20, s20, 1
	s_addc_u32 s21, s21, 0
	s_waitcnt vmcnt(0)
	v_and_b32_e32 v30, 0xffff, v4
	v_lshlrev_b64 v[4:5], s18, v[30:31]
	s_add_u32 s18, s18, 8
	s_addc_u32 s19, s19, 0
	v_or_b32_e32 v14, v4, v14
	s_cmp_lg_u32 s28, s20
	v_or_b32_e32 v15, v5, v15
	s_cbranch_scc1 .LBB4_308
	s_branch .LBB4_311
.LBB4_309:                              ;   in Loop: Header=BB4_290 Depth=1
                                        ; implicit-def: $sgpr7
	s_branch .LBB4_312
.LBB4_310:                              ;   in Loop: Header=BB4_290 Depth=1
	v_mov_b64_e32 v[14:15], 0
.LBB4_311:                              ;   in Loop: Header=BB4_290 Depth=1
	s_mov_b32 s7, 0
	s_cbranch_execnz .LBB4_313
.LBB4_312:                              ;   in Loop: Header=BB4_290 Depth=1
	global_load_dwordx2 v[14:15], v31, s[0:1]
	s_add_i32 s7, s28, -8
	s_add_u32 s0, s0, 8
	s_addc_u32 s1, s1, 0
.LBB4_313:                              ;   in Loop: Header=BB4_290 Depth=1
	s_cmp_gt_u32 s7, 7
	s_cbranch_scc1 .LBB4_317
; %bb.314:                              ;   in Loop: Header=BB4_290 Depth=1
	s_cmp_eq_u32 s7, 0
	s_cbranch_scc1 .LBB4_318
; %bb.315:                              ;   in Loop: Header=BB4_290 Depth=1
	s_mov_b64 s[18:19], 0
	v_mov_b64_e32 v[16:17], 0
	s_mov_b64 s[20:21], 0
.LBB4_316:                              ;   Parent Loop BB4_290 Depth=1
                                        ; =>  This Inner Loop Header: Depth=2
	s_add_u32 s28, s0, s20
	s_addc_u32 s29, s1, s21
	global_load_ubyte v4, v31, s[28:29]
	s_add_u32 s20, s20, 1
	s_addc_u32 s21, s21, 0
	s_waitcnt vmcnt(0)
	v_and_b32_e32 v30, 0xffff, v4
	v_lshlrev_b64 v[4:5], s18, v[30:31]
	s_add_u32 s18, s18, 8
	s_addc_u32 s19, s19, 0
	v_or_b32_e32 v16, v4, v16
	s_cmp_lg_u32 s7, s20
	v_or_b32_e32 v17, v5, v17
	s_cbranch_scc1 .LBB4_316
	s_branch .LBB4_319
.LBB4_317:                              ;   in Loop: Header=BB4_290 Depth=1
                                        ; implicit-def: $vgpr16_vgpr17
                                        ; implicit-def: $sgpr28
	s_branch .LBB4_320
.LBB4_318:                              ;   in Loop: Header=BB4_290 Depth=1
	v_mov_b64_e32 v[16:17], 0
.LBB4_319:                              ;   in Loop: Header=BB4_290 Depth=1
	s_mov_b32 s28, 0
	s_cbranch_execnz .LBB4_321
.LBB4_320:                              ;   in Loop: Header=BB4_290 Depth=1
	global_load_dwordx2 v[16:17], v31, s[0:1]
	s_add_i32 s28, s7, -8
	s_add_u32 s0, s0, 8
	s_addc_u32 s1, s1, 0
.LBB4_321:                              ;   in Loop: Header=BB4_290 Depth=1
	s_cmp_gt_u32 s28, 7
	s_cbranch_scc1 .LBB4_325
; %bb.322:                              ;   in Loop: Header=BB4_290 Depth=1
	s_cmp_eq_u32 s28, 0
	s_cbranch_scc1 .LBB4_326
; %bb.323:                              ;   in Loop: Header=BB4_290 Depth=1
	s_mov_b64 s[18:19], 0
	v_mov_b64_e32 v[18:19], 0
	s_mov_b64 s[20:21], 0
.LBB4_324:                              ;   Parent Loop BB4_290 Depth=1
                                        ; =>  This Inner Loop Header: Depth=2
	s_add_u32 s30, s0, s20
	s_addc_u32 s31, s1, s21
	global_load_ubyte v4, v31, s[30:31]
	s_add_u32 s20, s20, 1
	s_addc_u32 s21, s21, 0
	s_waitcnt vmcnt(0)
	v_and_b32_e32 v30, 0xffff, v4
	v_lshlrev_b64 v[4:5], s18, v[30:31]
	s_add_u32 s18, s18, 8
	s_addc_u32 s19, s19, 0
	v_or_b32_e32 v18, v4, v18
	s_cmp_lg_u32 s28, s20
	v_or_b32_e32 v19, v5, v19
	s_cbranch_scc1 .LBB4_324
	s_branch .LBB4_327
.LBB4_325:                              ;   in Loop: Header=BB4_290 Depth=1
                                        ; implicit-def: $sgpr7
	s_branch .LBB4_328
.LBB4_326:                              ;   in Loop: Header=BB4_290 Depth=1
	v_mov_b64_e32 v[18:19], 0
.LBB4_327:                              ;   in Loop: Header=BB4_290 Depth=1
	s_mov_b32 s7, 0
	s_cbranch_execnz .LBB4_329
.LBB4_328:                              ;   in Loop: Header=BB4_290 Depth=1
	global_load_dwordx2 v[18:19], v31, s[0:1]
	s_add_i32 s7, s28, -8
	s_add_u32 s0, s0, 8
	s_addc_u32 s1, s1, 0
.LBB4_329:                              ;   in Loop: Header=BB4_290 Depth=1
	s_cmp_gt_u32 s7, 7
	s_cbranch_scc1 .LBB4_333
; %bb.330:                              ;   in Loop: Header=BB4_290 Depth=1
	s_cmp_eq_u32 s7, 0
	s_cbranch_scc1 .LBB4_334
; %bb.331:                              ;   in Loop: Header=BB4_290 Depth=1
	s_mov_b64 s[18:19], 0
	v_mov_b64_e32 v[20:21], 0
	s_mov_b64 s[20:21], 0
.LBB4_332:                              ;   Parent Loop BB4_290 Depth=1
                                        ; =>  This Inner Loop Header: Depth=2
	s_add_u32 s28, s0, s20
	s_addc_u32 s29, s1, s21
	global_load_ubyte v4, v31, s[28:29]
	s_add_u32 s20, s20, 1
	s_addc_u32 s21, s21, 0
	s_waitcnt vmcnt(0)
	v_and_b32_e32 v30, 0xffff, v4
	v_lshlrev_b64 v[4:5], s18, v[30:31]
	s_add_u32 s18, s18, 8
	s_addc_u32 s19, s19, 0
	v_or_b32_e32 v20, v4, v20
	s_cmp_lg_u32 s7, s20
	v_or_b32_e32 v21, v5, v21
	s_cbranch_scc1 .LBB4_332
	s_branch .LBB4_335
.LBB4_333:                              ;   in Loop: Header=BB4_290 Depth=1
                                        ; implicit-def: $vgpr20_vgpr21
                                        ; implicit-def: $sgpr28
	s_branch .LBB4_336
.LBB4_334:                              ;   in Loop: Header=BB4_290 Depth=1
	v_mov_b64_e32 v[20:21], 0
.LBB4_335:                              ;   in Loop: Header=BB4_290 Depth=1
	s_mov_b32 s28, 0
	s_cbranch_execnz .LBB4_337
.LBB4_336:                              ;   in Loop: Header=BB4_290 Depth=1
	global_load_dwordx2 v[20:21], v31, s[0:1]
	s_add_i32 s28, s7, -8
	s_add_u32 s0, s0, 8
	s_addc_u32 s1, s1, 0
.LBB4_337:                              ;   in Loop: Header=BB4_290 Depth=1
	s_cmp_gt_u32 s28, 7
	s_cbranch_scc1 .LBB4_341
; %bb.338:                              ;   in Loop: Header=BB4_290 Depth=1
	s_cmp_eq_u32 s28, 0
	s_cbranch_scc1 .LBB4_342
; %bb.339:                              ;   in Loop: Header=BB4_290 Depth=1
	s_mov_b64 s[18:19], 0
	v_mov_b64_e32 v[22:23], 0
	s_mov_b64 s[20:21], s[0:1]
.LBB4_340:                              ;   Parent Loop BB4_290 Depth=1
                                        ; =>  This Inner Loop Header: Depth=2
	global_load_ubyte v4, v31, s[20:21]
	s_add_i32 s28, s28, -1
	s_waitcnt vmcnt(0)
	v_and_b32_e32 v30, 0xffff, v4
	v_lshlrev_b64 v[4:5], s18, v[30:31]
	s_add_u32 s18, s18, 8
	s_addc_u32 s19, s19, 0
	s_add_u32 s20, s20, 1
	s_addc_u32 s21, s21, 0
	v_or_b32_e32 v22, v4, v22
	s_cmp_lg_u32 s28, 0
	v_or_b32_e32 v23, v5, v23
	s_cbranch_scc1 .LBB4_340
	s_branch .LBB4_343
.LBB4_341:                              ;   in Loop: Header=BB4_290 Depth=1
	s_branch .LBB4_344
.LBB4_342:                              ;   in Loop: Header=BB4_290 Depth=1
	v_mov_b64_e32 v[22:23], 0
.LBB4_343:                              ;   in Loop: Header=BB4_290 Depth=1
	s_cbranch_execnz .LBB4_345
.LBB4_344:                              ;   in Loop: Header=BB4_290 Depth=1
	global_load_dwordx2 v[22:23], v31, s[0:1]
.LBB4_345:                              ;   in Loop: Header=BB4_290 Depth=1
	v_readfirstlane_b32 s0, v37
	s_waitcnt vmcnt(0)
	v_mov_b64_e32 v[4:5], 0
	v_cmp_eq_u32_e64 s[0:1], s0, v37
	s_and_saveexec_b64 s[18:19], s[0:1]
	s_cbranch_execz .LBB4_351
; %bb.346:                              ;   in Loop: Header=BB4_290 Depth=1
	global_load_dwordx2 v[26:27], v31, s[24:25] offset:24 sc0 sc1
	s_waitcnt vmcnt(0)
	buffer_inv sc0 sc1
	global_load_dwordx2 v[4:5], v31, s[24:25] offset:40
	global_load_dwordx2 v[8:9], v31, s[24:25]
	s_waitcnt vmcnt(1)
	v_and_b32_e32 v4, v4, v26
	v_and_b32_e32 v5, v5, v27
	v_mul_lo_u32 v5, v5, 24
	v_mul_hi_u32 v24, v4, 24
	v_add_u32_e32 v5, v24, v5
	v_mul_lo_u32 v4, v4, 24
	s_waitcnt vmcnt(0)
	v_lshl_add_u64 v[4:5], v[8:9], 0, v[4:5]
	global_load_dwordx2 v[24:25], v[4:5], off sc0 sc1
	s_waitcnt vmcnt(0)
	global_atomic_cmpswap_x2 v[4:5], v31, v[24:27], s[24:25] offset:24 sc0 sc1
	s_waitcnt vmcnt(0)
	buffer_inv sc0 sc1
	v_cmp_ne_u64_e32 vcc, v[4:5], v[26:27]
	s_and_saveexec_b64 s[20:21], vcc
	s_cbranch_execz .LBB4_350
; %bb.347:                              ;   in Loop: Header=BB4_290 Depth=1
	s_mov_b64 s[28:29], 0
.LBB4_348:                              ;   Parent Loop BB4_290 Depth=1
                                        ; =>  This Inner Loop Header: Depth=2
	s_sleep 1
	global_load_dwordx2 v[8:9], v31, s[24:25] offset:40
	global_load_dwordx2 v[24:25], v31, s[24:25]
	v_mov_b64_e32 v[26:27], v[4:5]
	s_waitcnt vmcnt(1)
	v_and_b32_e32 v4, v8, v26
	s_waitcnt vmcnt(0)
	v_mad_u64_u32 v[4:5], s[30:31], v4, 24, v[24:25]
	v_and_b32_e32 v9, v9, v27
	v_mov_b32_e32 v8, v5
	v_mad_u64_u32 v[8:9], s[30:31], v9, 24, v[8:9]
	v_mov_b32_e32 v5, v8
	global_load_dwordx2 v[24:25], v[4:5], off sc0 sc1
	s_waitcnt vmcnt(0)
	global_atomic_cmpswap_x2 v[4:5], v31, v[24:27], s[24:25] offset:24 sc0 sc1
	s_waitcnt vmcnt(0)
	buffer_inv sc0 sc1
	v_cmp_eq_u64_e32 vcc, v[4:5], v[26:27]
	s_or_b64 s[28:29], vcc, s[28:29]
	s_andn2_b64 exec, exec, s[28:29]
	s_cbranch_execnz .LBB4_348
; %bb.349:                              ;   in Loop: Header=BB4_290 Depth=1
	s_or_b64 exec, exec, s[28:29]
.LBB4_350:                              ;   in Loop: Header=BB4_290 Depth=1
	s_or_b64 exec, exec, s[20:21]
.LBB4_351:                              ;   in Loop: Header=BB4_290 Depth=1
	s_or_b64 exec, exec, s[18:19]
	global_load_dwordx2 v[8:9], v31, s[24:25] offset:40
	global_load_dwordx4 v[24:27], v31, s[24:25]
	v_readfirstlane_b32 s18, v4
	v_readfirstlane_b32 s19, v5
	s_mov_b64 s[20:21], exec
	s_waitcnt vmcnt(1)
	v_readfirstlane_b32 s28, v8
	v_readfirstlane_b32 s29, v9
	s_and_b64 s[28:29], s[18:19], s[28:29]
	s_mul_i32 s7, s29, 24
	s_mul_hi_u32 s30, s28, 24
	s_add_i32 s31, s30, s7
	s_mul_i32 s30, s28, 24
	s_waitcnt vmcnt(0)
	v_lshl_add_u64 v[32:33], v[24:25], 0, s[30:31]
	s_and_saveexec_b64 s[30:31], s[0:1]
	s_cbranch_execz .LBB4_353
; %bb.352:                              ;   in Loop: Header=BB4_290 Depth=1
	v_mov_b64_e32 v[4:5], s[20:21]
	global_store_dwordx4 v[32:33], v[4:7], off offset:8
.LBB4_353:                              ;   in Loop: Header=BB4_290 Depth=1
	s_or_b64 exec, exec, s[30:31]
	s_nop 0
	v_or_b32_e32 v5, v2, v28
	v_cmp_gt_u64_e64 vcc, s[14:15], 56
	s_lshl_b32 s7, s16, 2
	s_lshl_b64 s[20:21], s[28:29], 12
	v_cndmask_b32_e32 v2, v5, v2, vcc
	s_add_i32 s7, s7, 28
	v_lshl_add_u64 v[26:27], v[26:27], 0, s[20:21]
	v_or_b32_e32 v4, 0, v3
	s_and_b32 s7, s7, 0x1e0
	v_and_b32_e32 v2, 0xffffff1f, v2
	v_cndmask_b32_e32 v9, v4, v3, vcc
	v_or_b32_e32 v8, s7, v2
	v_readfirstlane_b32 s20, v26
	v_readfirstlane_b32 s21, v27
	s_nop 4
	global_store_dwordx4 v38, v[8:11], s[20:21]
	global_store_dwordx4 v38, v[12:15], s[20:21] offset:16
	global_store_dwordx4 v38, v[16:19], s[20:21] offset:32
	;; [unrolled: 1-line block ×3, first 2 shown]
	s_and_saveexec_b64 s[20:21], s[0:1]
	s_cbranch_execz .LBB4_361
; %bb.354:                              ;   in Loop: Header=BB4_290 Depth=1
	global_load_dwordx2 v[12:13], v31, s[24:25] offset:32 sc0 sc1
	global_load_dwordx2 v[2:3], v31, s[24:25] offset:40
	v_mov_b32_e32 v10, s18
	v_mov_b32_e32 v11, s19
	s_waitcnt vmcnt(0)
	v_readfirstlane_b32 s28, v2
	v_readfirstlane_b32 s29, v3
	s_and_b64 s[28:29], s[28:29], s[18:19]
	s_mul_i32 s7, s29, 24
	s_mul_hi_u32 s29, s28, 24
	s_mul_i32 s28, s28, 24
	s_add_i32 s29, s29, s7
	v_lshl_add_u64 v[8:9], v[24:25], 0, s[28:29]
	global_store_dwordx2 v[8:9], v[12:13], off
	buffer_wbl2 sc0 sc1
	s_waitcnt vmcnt(0)
	global_atomic_cmpswap_x2 v[4:5], v31, v[10:13], s[24:25] offset:32 sc0 sc1
	s_waitcnt vmcnt(0)
	v_cmp_ne_u64_e32 vcc, v[4:5], v[12:13]
	s_and_saveexec_b64 s[28:29], vcc
	s_cbranch_execz .LBB4_357
; %bb.355:                              ;   in Loop: Header=BB4_290 Depth=1
	s_mov_b64 s[30:31], 0
.LBB4_356:                              ;   Parent Loop BB4_290 Depth=1
                                        ; =>  This Inner Loop Header: Depth=2
	s_sleep 1
	global_store_dwordx2 v[8:9], v[4:5], off
	v_mov_b32_e32 v2, s18
	v_mov_b32_e32 v3, s19
	buffer_wbl2 sc0 sc1
	s_waitcnt vmcnt(0)
	global_atomic_cmpswap_x2 v[2:3], v31, v[2:5], s[24:25] offset:32 sc0 sc1
	s_waitcnt vmcnt(0)
	v_cmp_eq_u64_e32 vcc, v[2:3], v[4:5]
	s_or_b64 s[30:31], vcc, s[30:31]
	v_mov_b64_e32 v[4:5], v[2:3]
	s_andn2_b64 exec, exec, s[30:31]
	s_cbranch_execnz .LBB4_356
.LBB4_357:                              ;   in Loop: Header=BB4_290 Depth=1
	s_or_b64 exec, exec, s[28:29]
	global_load_dwordx2 v[2:3], v31, s[24:25] offset:16
	s_mov_b64 s[30:31], exec
	v_mbcnt_lo_u32_b32 v4, s30, 0
	v_mbcnt_hi_u32_b32 v4, s31, v4
	v_cmp_eq_u32_e32 vcc, 0, v4
	s_and_saveexec_b64 s[28:29], vcc
	s_cbranch_execz .LBB4_359
; %bb.358:                              ;   in Loop: Header=BB4_290 Depth=1
	s_bcnt1_i32_b64 s7, s[30:31]
	v_mov_b32_e32 v30, s7
	buffer_wbl2 sc0 sc1
	s_waitcnt vmcnt(0)
	global_atomic_add_x2 v[2:3], v[30:31], off offset:8 sc1
.LBB4_359:                              ;   in Loop: Header=BB4_290 Depth=1
	s_or_b64 exec, exec, s[28:29]
	s_waitcnt vmcnt(0)
	global_load_dwordx2 v[4:5], v[2:3], off offset:16
	s_waitcnt vmcnt(0)
	v_cmp_eq_u64_e32 vcc, 0, v[4:5]
	s_cbranch_vccnz .LBB4_361
; %bb.360:                              ;   in Loop: Header=BB4_290 Depth=1
	global_load_dword v30, v[2:3], off offset:24
	s_waitcnt vmcnt(0)
	v_and_b32_e32 v2, 0xffffff, v30
	s_nop 0
	v_readfirstlane_b32 m0, v2
	buffer_wbl2 sc0 sc1
	global_store_dwordx2 v[4:5], v[30:31], off sc0 sc1
	s_sendmsg sendmsg(MSG_INTERRUPT)
.LBB4_361:                              ;   in Loop: Header=BB4_290 Depth=1
	s_or_b64 exec, exec, s[20:21]
	v_mov_b32_e32 v39, v31
	v_lshl_add_u64 v[2:3], v[26:27], 0, v[38:39]
	s_branch .LBB4_365
.LBB4_362:                              ;   in Loop: Header=BB4_365 Depth=2
	s_or_b64 exec, exec, s[20:21]
	v_readfirstlane_b32 s7, v4
	s_cmp_eq_u32 s7, 0
	s_cbranch_scc1 .LBB4_364
; %bb.363:                              ;   in Loop: Header=BB4_365 Depth=2
	s_sleep 1
	s_cbranch_execnz .LBB4_365
	s_branch .LBB4_367
.LBB4_364:                              ;   in Loop: Header=BB4_290 Depth=1
	s_branch .LBB4_367
.LBB4_365:                              ;   Parent Loop BB4_290 Depth=1
                                        ; =>  This Inner Loop Header: Depth=2
	v_mov_b32_e32 v4, 1
	s_and_saveexec_b64 s[20:21], s[0:1]
	s_cbranch_execz .LBB4_362
; %bb.366:                              ;   in Loop: Header=BB4_365 Depth=2
	global_load_dword v4, v[32:33], off offset:20 sc0 sc1
	s_waitcnt vmcnt(0)
	buffer_inv sc0 sc1
	v_and_b32_e32 v4, 1, v4
	s_branch .LBB4_362
.LBB4_367:                              ;   in Loop: Header=BB4_290 Depth=1
	global_load_dwordx4 v[2:5], v[2:3], off
	s_and_saveexec_b64 s[20:21], s[0:1]
	s_cbranch_execz .LBB4_289
; %bb.368:                              ;   in Loop: Header=BB4_290 Depth=1
	global_load_dwordx2 v[4:5], v31, s[24:25] offset:40
	global_load_dwordx2 v[12:13], v31, s[24:25] offset:24 sc0 sc1
	global_load_dwordx2 v[14:15], v31, s[24:25]
	s_waitcnt vmcnt(2)
	v_lshl_add_u64 v[8:9], v[4:5], 0, 1
	v_lshl_add_u64 v[16:17], v[8:9], 0, s[18:19]
	v_cmp_eq_u64_e32 vcc, 0, v[16:17]
	s_waitcnt vmcnt(1)
	v_mov_b32_e32 v10, v12
	v_cndmask_b32_e32 v9, v17, v9, vcc
	v_cndmask_b32_e32 v8, v16, v8, vcc
	v_and_b32_e32 v5, v9, v5
	v_and_b32_e32 v4, v8, v4
	v_mul_lo_u32 v5, v5, 24
	v_mul_hi_u32 v11, v4, 24
	v_mul_lo_u32 v4, v4, 24
	v_add_u32_e32 v5, v11, v5
	s_waitcnt vmcnt(0)
	v_lshl_add_u64 v[4:5], v[14:15], 0, v[4:5]
	global_store_dwordx2 v[4:5], v[12:13], off
	v_mov_b32_e32 v11, v13
	buffer_wbl2 sc0 sc1
	s_waitcnt vmcnt(0)
	global_atomic_cmpswap_x2 v[10:11], v31, v[8:11], s[24:25] offset:24 sc0 sc1
	s_waitcnt vmcnt(0)
	v_cmp_ne_u64_e32 vcc, v[10:11], v[12:13]
	s_and_b64 exec, exec, vcc
	s_cbranch_execz .LBB4_289
; %bb.369:                              ;   in Loop: Header=BB4_290 Depth=1
	s_mov_b64 s[0:1], 0
.LBB4_370:                              ;   Parent Loop BB4_290 Depth=1
                                        ; =>  This Inner Loop Header: Depth=2
	s_sleep 1
	global_store_dwordx2 v[4:5], v[10:11], off
	buffer_wbl2 sc0 sc1
	s_waitcnt vmcnt(0)
	global_atomic_cmpswap_x2 v[12:13], v31, v[8:11], s[24:25] offset:24 sc0 sc1
	s_waitcnt vmcnt(0)
	v_cmp_eq_u64_e32 vcc, v[12:13], v[10:11]
	s_or_b64 s[0:1], vcc, s[0:1]
	v_mov_b64_e32 v[10:11], v[12:13]
	s_andn2_b64 exec, exec, s[0:1]
	s_cbranch_execnz .LBB4_370
	s_branch .LBB4_289
.LBB4_371:
	s_branch .LBB4_399
.LBB4_372:
                                        ; implicit-def: $vgpr2_vgpr3
	s_cbranch_execz .LBB4_399
; %bb.373:
	v_readfirstlane_b32 s0, v37
	s_waitcnt vmcnt(0)
	v_mov_b64_e32 v[2:3], 0
	v_cmp_eq_u32_e64 s[0:1], s0, v37
	s_and_saveexec_b64 s[12:13], s[0:1]
	s_cbranch_execz .LBB4_379
; %bb.374:
	v_mov_b32_e32 v4, 0
	global_load_dwordx2 v[8:9], v4, s[24:25] offset:24 sc0 sc1
	s_waitcnt vmcnt(0)
	buffer_inv sc0 sc1
	global_load_dwordx2 v[2:3], v4, s[24:25] offset:40
	global_load_dwordx2 v[6:7], v4, s[24:25]
	s_waitcnt vmcnt(1)
	v_and_b32_e32 v2, v2, v8
	v_and_b32_e32 v3, v3, v9
	v_mul_lo_u32 v3, v3, 24
	v_mul_hi_u32 v5, v2, 24
	v_add_u32_e32 v3, v5, v3
	v_mul_lo_u32 v2, v2, 24
	s_waitcnt vmcnt(0)
	v_lshl_add_u64 v[2:3], v[6:7], 0, v[2:3]
	global_load_dwordx2 v[6:7], v[2:3], off sc0 sc1
	s_waitcnt vmcnt(0)
	global_atomic_cmpswap_x2 v[2:3], v4, v[6:9], s[24:25] offset:24 sc0 sc1
	s_waitcnt vmcnt(0)
	buffer_inv sc0 sc1
	v_cmp_ne_u64_e32 vcc, v[2:3], v[8:9]
	s_and_saveexec_b64 s[14:15], vcc
	s_cbranch_execz .LBB4_378
; %bb.375:
	s_mov_b64 s[16:17], 0
.LBB4_376:                              ; =>This Inner Loop Header: Depth=1
	s_sleep 1
	global_load_dwordx2 v[6:7], v4, s[24:25] offset:40
	global_load_dwordx2 v[10:11], v4, s[24:25]
	v_mov_b64_e32 v[8:9], v[2:3]
	s_waitcnt vmcnt(1)
	v_and_b32_e32 v2, v6, v8
	s_waitcnt vmcnt(0)
	v_mad_u64_u32 v[2:3], s[18:19], v2, 24, v[10:11]
	v_and_b32_e32 v5, v7, v9
	v_mov_b32_e32 v6, v3
	v_mad_u64_u32 v[6:7], s[18:19], v5, 24, v[6:7]
	v_mov_b32_e32 v3, v6
	global_load_dwordx2 v[6:7], v[2:3], off sc0 sc1
	s_waitcnt vmcnt(0)
	global_atomic_cmpswap_x2 v[2:3], v4, v[6:9], s[24:25] offset:24 sc0 sc1
	s_waitcnt vmcnt(0)
	buffer_inv sc0 sc1
	v_cmp_eq_u64_e32 vcc, v[2:3], v[8:9]
	s_or_b64 s[16:17], vcc, s[16:17]
	s_andn2_b64 exec, exec, s[16:17]
	s_cbranch_execnz .LBB4_376
; %bb.377:
	s_or_b64 exec, exec, s[16:17]
.LBB4_378:
	s_or_b64 exec, exec, s[14:15]
.LBB4_379:
	s_or_b64 exec, exec, s[12:13]
	v_mov_b32_e32 v39, 0
	global_load_dwordx2 v[8:9], v39, s[24:25] offset:40
	global_load_dwordx4 v[4:7], v39, s[24:25]
	v_readfirstlane_b32 s12, v2
	v_readfirstlane_b32 s13, v3
	s_mov_b64 s[14:15], exec
	s_waitcnt vmcnt(1)
	v_readfirstlane_b32 s16, v8
	v_readfirstlane_b32 s17, v9
	s_and_b64 s[16:17], s[12:13], s[16:17]
	s_mul_i32 s7, s17, 24
	s_mul_hi_u32 s18, s16, 24
	s_add_i32 s19, s18, s7
	s_mul_i32 s18, s16, 24
	s_waitcnt vmcnt(0)
	v_lshl_add_u64 v[8:9], v[4:5], 0, s[18:19]
	s_and_saveexec_b64 s[18:19], s[0:1]
	s_cbranch_execz .LBB4_381
; %bb.380:
	v_mov_b64_e32 v[10:11], s[14:15]
	v_mov_b32_e32 v12, 2
	v_mov_b32_e32 v13, 1
	global_store_dwordx4 v[8:9], v[10:13], off offset:8
.LBB4_381:
	s_or_b64 exec, exec, s[18:19]
	s_lshl_b64 s[14:15], s[16:17], 12
	v_lshl_add_u64 v[6:7], v[6:7], 0, s[14:15]
	s_movk_i32 s7, 0xff1f
	s_mov_b32 s16, 0
	v_and_or_b32 v0, v0, s7, 32
	v_mov_b32_e32 v2, v39
	v_mov_b32_e32 v3, v39
	v_readfirstlane_b32 s14, v6
	v_readfirstlane_b32 s15, v7
	s_mov_b32 s17, s16
	s_mov_b32 s18, s16
	;; [unrolled: 1-line block ×3, first 2 shown]
	s_nop 1
	global_store_dwordx4 v38, v[0:3], s[14:15]
	s_nop 1
	v_mov_b64_e32 v[0:1], s[16:17]
	v_mov_b64_e32 v[2:3], s[18:19]
	global_store_dwordx4 v38, v[0:3], s[14:15] offset:16
	global_store_dwordx4 v38, v[0:3], s[14:15] offset:32
	;; [unrolled: 1-line block ×3, first 2 shown]
	s_and_saveexec_b64 s[14:15], s[0:1]
	s_cbranch_execz .LBB4_389
; %bb.382:
	v_mov_b32_e32 v10, 0
	global_load_dwordx2 v[14:15], v10, s[24:25] offset:32 sc0 sc1
	global_load_dwordx2 v[0:1], v10, s[24:25] offset:40
	v_mov_b32_e32 v12, s12
	v_mov_b32_e32 v13, s13
	s_waitcnt vmcnt(0)
	v_readfirstlane_b32 s16, v0
	v_readfirstlane_b32 s17, v1
	s_and_b64 s[16:17], s[16:17], s[12:13]
	s_mul_i32 s7, s17, 24
	s_mul_hi_u32 s17, s16, 24
	s_mul_i32 s16, s16, 24
	s_add_i32 s17, s17, s7
	v_lshl_add_u64 v[4:5], v[4:5], 0, s[16:17]
	global_store_dwordx2 v[4:5], v[14:15], off
	buffer_wbl2 sc0 sc1
	s_waitcnt vmcnt(0)
	global_atomic_cmpswap_x2 v[2:3], v10, v[12:15], s[24:25] offset:32 sc0 sc1
	s_waitcnt vmcnt(0)
	v_cmp_ne_u64_e32 vcc, v[2:3], v[14:15]
	s_and_saveexec_b64 s[16:17], vcc
	s_cbranch_execz .LBB4_385
; %bb.383:
	s_mov_b64 s[18:19], 0
.LBB4_384:                              ; =>This Inner Loop Header: Depth=1
	s_sleep 1
	global_store_dwordx2 v[4:5], v[2:3], off
	v_mov_b32_e32 v0, s12
	v_mov_b32_e32 v1, s13
	buffer_wbl2 sc0 sc1
	s_waitcnt vmcnt(0)
	global_atomic_cmpswap_x2 v[0:1], v10, v[0:3], s[24:25] offset:32 sc0 sc1
	s_waitcnt vmcnt(0)
	v_cmp_eq_u64_e32 vcc, v[0:1], v[2:3]
	s_or_b64 s[18:19], vcc, s[18:19]
	v_mov_b64_e32 v[2:3], v[0:1]
	s_andn2_b64 exec, exec, s[18:19]
	s_cbranch_execnz .LBB4_384
.LBB4_385:
	s_or_b64 exec, exec, s[16:17]
	v_mov_b32_e32 v3, 0
	global_load_dwordx2 v[0:1], v3, s[24:25] offset:16
	s_mov_b64 s[16:17], exec
	v_mbcnt_lo_u32_b32 v2, s16, 0
	v_mbcnt_hi_u32_b32 v2, s17, v2
	v_cmp_eq_u32_e32 vcc, 0, v2
	s_and_saveexec_b64 s[18:19], vcc
	s_cbranch_execz .LBB4_387
; %bb.386:
	s_bcnt1_i32_b64 s7, s[16:17]
	v_mov_b32_e32 v2, s7
	buffer_wbl2 sc0 sc1
	s_waitcnt vmcnt(0)
	global_atomic_add_x2 v[0:1], v[2:3], off offset:8 sc1
.LBB4_387:
	s_or_b64 exec, exec, s[18:19]
	s_waitcnt vmcnt(0)
	global_load_dwordx2 v[2:3], v[0:1], off offset:16
	s_waitcnt vmcnt(0)
	v_cmp_eq_u64_e32 vcc, 0, v[2:3]
	s_cbranch_vccnz .LBB4_389
; %bb.388:
	global_load_dword v0, v[0:1], off offset:24
	v_mov_b32_e32 v1, 0
	buffer_wbl2 sc0 sc1
	s_waitcnt vmcnt(0)
	global_store_dwordx2 v[2:3], v[0:1], off sc0 sc1
	v_and_b32_e32 v0, 0xffffff, v0
	s_nop 0
	v_readfirstlane_b32 m0, v0
	s_sendmsg sendmsg(MSG_INTERRUPT)
.LBB4_389:
	s_or_b64 exec, exec, s[14:15]
	v_lshl_add_u64 v[0:1], v[6:7], 0, v[38:39]
	s_branch .LBB4_393
.LBB4_390:                              ;   in Loop: Header=BB4_393 Depth=1
	s_or_b64 exec, exec, s[14:15]
	v_readfirstlane_b32 s7, v2
	s_cmp_eq_u32 s7, 0
	s_cbranch_scc1 .LBB4_392
; %bb.391:                              ;   in Loop: Header=BB4_393 Depth=1
	s_sleep 1
	s_cbranch_execnz .LBB4_393
	s_branch .LBB4_395
.LBB4_392:
	s_branch .LBB4_395
.LBB4_393:                              ; =>This Inner Loop Header: Depth=1
	v_mov_b32_e32 v2, 1
	s_and_saveexec_b64 s[14:15], s[0:1]
	s_cbranch_execz .LBB4_390
; %bb.394:                              ;   in Loop: Header=BB4_393 Depth=1
	global_load_dword v2, v[8:9], off offset:20 sc0 sc1
	s_waitcnt vmcnt(0)
	buffer_inv sc0 sc1
	v_and_b32_e32 v2, 1, v2
	s_branch .LBB4_390
.LBB4_395:
	global_load_dwordx2 v[2:3], v[0:1], off
	s_and_saveexec_b64 s[14:15], s[0:1]
	s_cbranch_execz .LBB4_398
; %bb.396:
	v_mov_b32_e32 v8, 0
	global_load_dwordx2 v[0:1], v8, s[24:25] offset:40
	global_load_dwordx2 v[10:11], v8, s[24:25] offset:24 sc0 sc1
	global_load_dwordx2 v[12:13], v8, s[24:25]
	s_mov_b64 s[0:1], 0
	s_waitcnt vmcnt(2)
	v_lshl_add_u64 v[4:5], v[0:1], 0, 1
	v_lshl_add_u64 v[14:15], v[4:5], 0, s[12:13]
	v_cmp_eq_u64_e32 vcc, 0, v[14:15]
	s_waitcnt vmcnt(1)
	v_mov_b32_e32 v6, v10
	v_cndmask_b32_e32 v5, v15, v5, vcc
	v_cndmask_b32_e32 v4, v14, v4, vcc
	v_and_b32_e32 v1, v5, v1
	v_and_b32_e32 v0, v4, v0
	v_mul_lo_u32 v1, v1, 24
	v_mul_hi_u32 v7, v0, 24
	v_mul_lo_u32 v0, v0, 24
	v_add_u32_e32 v1, v7, v1
	s_waitcnt vmcnt(0)
	v_lshl_add_u64 v[0:1], v[12:13], 0, v[0:1]
	global_store_dwordx2 v[0:1], v[10:11], off
	v_mov_b32_e32 v7, v11
	buffer_wbl2 sc0 sc1
	s_waitcnt vmcnt(0)
	global_atomic_cmpswap_x2 v[6:7], v8, v[4:7], s[24:25] offset:24 sc0 sc1
	s_waitcnt vmcnt(0)
	v_cmp_ne_u64_e32 vcc, v[6:7], v[10:11]
	s_and_b64 exec, exec, vcc
	s_cbranch_execz .LBB4_398
.LBB4_397:                              ; =>This Inner Loop Header: Depth=1
	s_sleep 1
	global_store_dwordx2 v[0:1], v[6:7], off
	buffer_wbl2 sc0 sc1
	s_waitcnt vmcnt(0)
	global_atomic_cmpswap_x2 v[10:11], v8, v[4:7], s[24:25] offset:24 sc0 sc1
	s_waitcnt vmcnt(0)
	v_cmp_eq_u64_e32 vcc, v[10:11], v[6:7]
	s_or_b64 s[0:1], vcc, s[0:1]
	v_mov_b64_e32 v[6:7], v[10:11]
	s_andn2_b64 exec, exec, s[0:1]
	s_cbranch_execnz .LBB4_397
.LBB4_398:
	s_or_b64 exec, exec, s[14:15]
.LBB4_399:
	v_readfirstlane_b32 s0, v37
	s_waitcnt vmcnt(0)
	v_mov_b64_e32 v[0:1], 0
	v_cmp_eq_u32_e64 s[0:1], s0, v37
	s_and_saveexec_b64 s[12:13], s[0:1]
	s_cbranch_execz .LBB4_405
; %bb.400:
	v_mov_b32_e32 v4, 0
	global_load_dwordx2 v[8:9], v4, s[24:25] offset:24 sc0 sc1
	s_waitcnt vmcnt(0)
	buffer_inv sc0 sc1
	global_load_dwordx2 v[0:1], v4, s[24:25] offset:40
	global_load_dwordx2 v[6:7], v4, s[24:25]
	s_waitcnt vmcnt(1)
	v_and_b32_e32 v0, v0, v8
	v_and_b32_e32 v1, v1, v9
	v_mul_lo_u32 v1, v1, 24
	v_mul_hi_u32 v5, v0, 24
	v_add_u32_e32 v1, v5, v1
	v_mul_lo_u32 v0, v0, 24
	s_waitcnt vmcnt(0)
	v_lshl_add_u64 v[0:1], v[6:7], 0, v[0:1]
	global_load_dwordx2 v[6:7], v[0:1], off sc0 sc1
	s_waitcnt vmcnt(0)
	global_atomic_cmpswap_x2 v[0:1], v4, v[6:9], s[24:25] offset:24 sc0 sc1
	s_waitcnt vmcnt(0)
	buffer_inv sc0 sc1
	v_cmp_ne_u64_e32 vcc, v[0:1], v[8:9]
	s_and_saveexec_b64 s[14:15], vcc
	s_cbranch_execz .LBB4_404
; %bb.401:
	s_mov_b64 s[16:17], 0
.LBB4_402:                              ; =>This Inner Loop Header: Depth=1
	s_sleep 1
	global_load_dwordx2 v[6:7], v4, s[24:25] offset:40
	global_load_dwordx2 v[10:11], v4, s[24:25]
	v_mov_b64_e32 v[8:9], v[0:1]
	s_waitcnt vmcnt(1)
	v_and_b32_e32 v0, v6, v8
	s_waitcnt vmcnt(0)
	v_mad_u64_u32 v[0:1], s[18:19], v0, 24, v[10:11]
	v_and_b32_e32 v5, v7, v9
	v_mov_b32_e32 v6, v1
	v_mad_u64_u32 v[6:7], s[18:19], v5, 24, v[6:7]
	v_mov_b32_e32 v1, v6
	global_load_dwordx2 v[6:7], v[0:1], off sc0 sc1
	s_waitcnt vmcnt(0)
	global_atomic_cmpswap_x2 v[0:1], v4, v[6:9], s[24:25] offset:24 sc0 sc1
	s_waitcnt vmcnt(0)
	buffer_inv sc0 sc1
	v_cmp_eq_u64_e32 vcc, v[0:1], v[8:9]
	s_or_b64 s[16:17], vcc, s[16:17]
	s_andn2_b64 exec, exec, s[16:17]
	s_cbranch_execnz .LBB4_402
; %bb.403:
	s_or_b64 exec, exec, s[16:17]
.LBB4_404:
	s_or_b64 exec, exec, s[14:15]
.LBB4_405:
	s_or_b64 exec, exec, s[12:13]
	v_mov_b32_e32 v5, 0
	global_load_dwordx2 v[10:11], v5, s[24:25] offset:40
	global_load_dwordx4 v[6:9], v5, s[24:25]
	v_readfirstlane_b32 s12, v0
	v_readfirstlane_b32 s13, v1
	s_mov_b64 s[14:15], exec
	s_waitcnt vmcnt(1)
	v_readfirstlane_b32 s16, v10
	v_readfirstlane_b32 s17, v11
	s_and_b64 s[16:17], s[12:13], s[16:17]
	s_mul_i32 s7, s17, 24
	s_mul_hi_u32 s18, s16, 24
	s_add_i32 s19, s18, s7
	s_mul_i32 s18, s16, 24
	s_waitcnt vmcnt(0)
	v_lshl_add_u64 v[10:11], v[6:7], 0, s[18:19]
	s_and_saveexec_b64 s[18:19], s[0:1]
	s_cbranch_execz .LBB4_407
; %bb.406:
	v_mov_b64_e32 v[12:13], s[14:15]
	v_mov_b32_e32 v14, 2
	v_mov_b32_e32 v15, 1
	global_store_dwordx4 v[10:11], v[12:15], off offset:8
.LBB4_407:
	s_or_b64 exec, exec, s[18:19]
	s_lshl_b64 s[14:15], s[16:17], 12
	v_lshl_add_u64 v[0:1], v[8:9], 0, s[14:15]
	s_movk_i32 s7, 0xff1d
	s_mov_b32 s16, 0
	v_and_or_b32 v2, v2, s7, 34
	v_mov_b32_e32 v4, 10
	v_readfirstlane_b32 s14, v0
	v_readfirstlane_b32 s15, v1
	s_mov_b32 s17, s16
	s_mov_b32 s18, s16
	;; [unrolled: 1-line block ×3, first 2 shown]
	s_nop 1
	global_store_dwordx4 v38, v[2:5], s[14:15]
	v_mov_b64_e32 v[0:1], s[16:17]
	s_nop 0
	v_mov_b64_e32 v[2:3], s[18:19]
	global_store_dwordx4 v38, v[0:3], s[14:15] offset:16
	global_store_dwordx4 v38, v[0:3], s[14:15] offset:32
	;; [unrolled: 1-line block ×3, first 2 shown]
	s_and_saveexec_b64 s[14:15], s[0:1]
	s_cbranch_execz .LBB4_415
; %bb.408:
	v_mov_b32_e32 v8, 0
	global_load_dwordx2 v[14:15], v8, s[24:25] offset:32 sc0 sc1
	global_load_dwordx2 v[0:1], v8, s[24:25] offset:40
	v_mov_b32_e32 v12, s12
	v_mov_b32_e32 v13, s13
	s_waitcnt vmcnt(0)
	v_readfirstlane_b32 s16, v0
	v_readfirstlane_b32 s17, v1
	s_and_b64 s[16:17], s[16:17], s[12:13]
	s_mul_i32 s7, s17, 24
	s_mul_hi_u32 s17, s16, 24
	s_mul_i32 s16, s16, 24
	s_add_i32 s17, s17, s7
	v_lshl_add_u64 v[4:5], v[6:7], 0, s[16:17]
	global_store_dwordx2 v[4:5], v[14:15], off
	buffer_wbl2 sc0 sc1
	s_waitcnt vmcnt(0)
	global_atomic_cmpswap_x2 v[2:3], v8, v[12:15], s[24:25] offset:32 sc0 sc1
	s_waitcnt vmcnt(0)
	v_cmp_ne_u64_e32 vcc, v[2:3], v[14:15]
	s_and_saveexec_b64 s[16:17], vcc
	s_cbranch_execz .LBB4_411
; %bb.409:
	s_mov_b64 s[18:19], 0
.LBB4_410:                              ; =>This Inner Loop Header: Depth=1
	s_sleep 1
	global_store_dwordx2 v[4:5], v[2:3], off
	v_mov_b32_e32 v0, s12
	v_mov_b32_e32 v1, s13
	buffer_wbl2 sc0 sc1
	s_waitcnt vmcnt(0)
	global_atomic_cmpswap_x2 v[0:1], v8, v[0:3], s[24:25] offset:32 sc0 sc1
	s_waitcnt vmcnt(0)
	v_cmp_eq_u64_e32 vcc, v[0:1], v[2:3]
	s_or_b64 s[18:19], vcc, s[18:19]
	v_mov_b64_e32 v[2:3], v[0:1]
	s_andn2_b64 exec, exec, s[18:19]
	s_cbranch_execnz .LBB4_410
.LBB4_411:
	s_or_b64 exec, exec, s[16:17]
	v_mov_b32_e32 v3, 0
	global_load_dwordx2 v[0:1], v3, s[24:25] offset:16
	s_mov_b64 s[16:17], exec
	v_mbcnt_lo_u32_b32 v2, s16, 0
	v_mbcnt_hi_u32_b32 v2, s17, v2
	v_cmp_eq_u32_e32 vcc, 0, v2
	s_and_saveexec_b64 s[18:19], vcc
	s_cbranch_execz .LBB4_413
; %bb.412:
	s_bcnt1_i32_b64 s7, s[16:17]
	v_mov_b32_e32 v2, s7
	buffer_wbl2 sc0 sc1
	s_waitcnt vmcnt(0)
	global_atomic_add_x2 v[0:1], v[2:3], off offset:8 sc1
.LBB4_413:
	s_or_b64 exec, exec, s[18:19]
	s_waitcnt vmcnt(0)
	global_load_dwordx2 v[2:3], v[0:1], off offset:16
	s_waitcnt vmcnt(0)
	v_cmp_eq_u64_e32 vcc, 0, v[2:3]
	s_cbranch_vccnz .LBB4_415
; %bb.414:
	global_load_dword v0, v[0:1], off offset:24
	v_mov_b32_e32 v1, 0
	buffer_wbl2 sc0 sc1
	s_waitcnt vmcnt(0)
	global_store_dwordx2 v[2:3], v[0:1], off sc0 sc1
	v_and_b32_e32 v0, 0xffffff, v0
	s_nop 0
	v_readfirstlane_b32 m0, v0
	s_sendmsg sendmsg(MSG_INTERRUPT)
.LBB4_415:
	s_or_b64 exec, exec, s[14:15]
	s_branch .LBB4_419
.LBB4_416:                              ;   in Loop: Header=BB4_419 Depth=1
	s_or_b64 exec, exec, s[14:15]
	v_readfirstlane_b32 s7, v0
	s_cmp_eq_u32 s7, 0
	s_cbranch_scc1 .LBB4_418
; %bb.417:                              ;   in Loop: Header=BB4_419 Depth=1
	s_sleep 1
	s_cbranch_execnz .LBB4_419
	s_branch .LBB4_421
.LBB4_418:
	s_branch .LBB4_421
.LBB4_419:                              ; =>This Inner Loop Header: Depth=1
	v_mov_b32_e32 v0, 1
	s_and_saveexec_b64 s[14:15], s[0:1]
	s_cbranch_execz .LBB4_416
; %bb.420:                              ;   in Loop: Header=BB4_419 Depth=1
	global_load_dword v0, v[10:11], off offset:20 sc0 sc1
	s_waitcnt vmcnt(0)
	buffer_inv sc0 sc1
	v_and_b32_e32 v0, 1, v0
	s_branch .LBB4_416
.LBB4_421:
	s_and_saveexec_b64 s[14:15], s[0:1]
	s_cbranch_execz .LBB4_424
; %bb.422:
	v_mov_b32_e32 v6, 0
	global_load_dwordx2 v[4:5], v6, s[24:25] offset:40
	global_load_dwordx2 v[8:9], v6, s[24:25] offset:24 sc0 sc1
	global_load_dwordx2 v[10:11], v6, s[24:25]
	s_mov_b64 s[0:1], 0
	s_waitcnt vmcnt(2)
	v_lshl_add_u64 v[0:1], v[4:5], 0, 1
	v_lshl_add_u64 v[12:13], v[0:1], 0, s[12:13]
	v_cmp_eq_u64_e32 vcc, 0, v[12:13]
	s_waitcnt vmcnt(1)
	v_mov_b32_e32 v2, v8
	v_cndmask_b32_e32 v1, v13, v1, vcc
	v_cndmask_b32_e32 v0, v12, v0, vcc
	v_and_b32_e32 v3, v1, v5
	v_and_b32_e32 v4, v0, v4
	v_mul_lo_u32 v3, v3, 24
	v_mul_hi_u32 v5, v4, 24
	v_mul_lo_u32 v4, v4, 24
	v_add_u32_e32 v5, v5, v3
	s_waitcnt vmcnt(0)
	v_lshl_add_u64 v[4:5], v[10:11], 0, v[4:5]
	global_store_dwordx2 v[4:5], v[8:9], off
	v_mov_b32_e32 v3, v9
	buffer_wbl2 sc0 sc1
	s_waitcnt vmcnt(0)
	global_atomic_cmpswap_x2 v[2:3], v6, v[0:3], s[24:25] offset:24 sc0 sc1
	s_waitcnt vmcnt(0)
	v_cmp_ne_u64_e32 vcc, v[2:3], v[8:9]
	s_and_b64 exec, exec, vcc
	s_cbranch_execz .LBB4_424
.LBB4_423:                              ; =>This Inner Loop Header: Depth=1
	s_sleep 1
	global_store_dwordx2 v[4:5], v[2:3], off
	buffer_wbl2 sc0 sc1
	s_waitcnt vmcnt(0)
	global_atomic_cmpswap_x2 v[8:9], v6, v[0:3], s[24:25] offset:24 sc0 sc1
	s_waitcnt vmcnt(0)
	v_cmp_eq_u64_e32 vcc, v[8:9], v[2:3]
	s_or_b64 s[0:1], vcc, s[0:1]
	v_mov_b64_e32 v[2:3], v[8:9]
	s_andn2_b64 exec, exec, s[0:1]
	s_cbranch_execnz .LBB4_423
.LBB4_424:
	s_or_b64 exec, exec, s[14:15]
	v_readfirstlane_b32 s0, v37
	v_mov_b64_e32 v[4:5], 0
	s_nop 0
	v_cmp_eq_u32_e64 s[0:1], s0, v37
	s_and_saveexec_b64 s[12:13], s[0:1]
	s_cbranch_execz .LBB4_430
; %bb.425:
	v_mov_b32_e32 v0, 0
	global_load_dwordx2 v[6:7], v0, s[24:25] offset:24 sc0 sc1
	s_waitcnt vmcnt(0)
	buffer_inv sc0 sc1
	global_load_dwordx2 v[2:3], v0, s[24:25] offset:40
	global_load_dwordx2 v[4:5], v0, s[24:25]
	s_waitcnt vmcnt(1)
	v_and_b32_e32 v1, v2, v6
	v_and_b32_e32 v2, v3, v7
	v_mul_lo_u32 v2, v2, 24
	v_mul_hi_u32 v3, v1, 24
	v_add_u32_e32 v3, v3, v2
	v_mul_lo_u32 v2, v1, 24
	s_waitcnt vmcnt(0)
	v_lshl_add_u64 v[2:3], v[4:5], 0, v[2:3]
	global_load_dwordx2 v[4:5], v[2:3], off sc0 sc1
	s_waitcnt vmcnt(0)
	global_atomic_cmpswap_x2 v[4:5], v0, v[4:7], s[24:25] offset:24 sc0 sc1
	s_waitcnt vmcnt(0)
	buffer_inv sc0 sc1
	v_cmp_ne_u64_e32 vcc, v[4:5], v[6:7]
	s_and_saveexec_b64 s[14:15], vcc
	s_cbranch_execz .LBB4_429
; %bb.426:
	s_mov_b64 s[16:17], 0
.LBB4_427:                              ; =>This Inner Loop Header: Depth=1
	s_sleep 1
	global_load_dwordx2 v[2:3], v0, s[24:25] offset:40
	global_load_dwordx2 v[8:9], v0, s[24:25]
	v_mov_b64_e32 v[6:7], v[4:5]
	s_waitcnt vmcnt(1)
	v_and_b32_e32 v2, v2, v6
	v_and_b32_e32 v1, v3, v7
	s_waitcnt vmcnt(0)
	v_mad_u64_u32 v[2:3], s[18:19], v2, 24, v[8:9]
	v_mov_b32_e32 v4, v3
	v_mad_u64_u32 v[4:5], s[18:19], v1, 24, v[4:5]
	v_mov_b32_e32 v3, v4
	global_load_dwordx2 v[4:5], v[2:3], off sc0 sc1
	s_waitcnt vmcnt(0)
	global_atomic_cmpswap_x2 v[4:5], v0, v[4:7], s[24:25] offset:24 sc0 sc1
	s_waitcnt vmcnt(0)
	buffer_inv sc0 sc1
	v_cmp_eq_u64_e32 vcc, v[4:5], v[6:7]
	s_or_b64 s[16:17], vcc, s[16:17]
	s_andn2_b64 exec, exec, s[16:17]
	s_cbranch_execnz .LBB4_427
; %bb.428:
	s_or_b64 exec, exec, s[16:17]
.LBB4_429:
	s_or_b64 exec, exec, s[14:15]
.LBB4_430:
	s_or_b64 exec, exec, s[12:13]
	v_mov_b32_e32 v39, 0
	global_load_dwordx2 v[6:7], v39, s[24:25] offset:40
	global_load_dwordx4 v[0:3], v39, s[24:25]
	v_readfirstlane_b32 s12, v4
	v_readfirstlane_b32 s13, v5
	s_mov_b64 s[14:15], exec
	s_waitcnt vmcnt(1)
	v_readfirstlane_b32 s16, v6
	v_readfirstlane_b32 s17, v7
	s_and_b64 s[16:17], s[12:13], s[16:17]
	s_mul_i32 s7, s17, 24
	s_mul_hi_u32 s18, s16, 24
	s_add_i32 s19, s18, s7
	s_mul_i32 s18, s16, 24
	s_waitcnt vmcnt(0)
	v_lshl_add_u64 v[4:5], v[0:1], 0, s[18:19]
	s_and_saveexec_b64 s[18:19], s[0:1]
	s_cbranch_execz .LBB4_432
; %bb.431:
	v_mov_b64_e32 v[6:7], s[14:15]
	v_mov_b32_e32 v8, 2
	v_mov_b32_e32 v9, 1
	global_store_dwordx4 v[4:5], v[6:9], off offset:8
.LBB4_432:
	s_or_b64 exec, exec, s[18:19]
	s_lshl_b64 s[14:15], s[16:17], 12
	v_lshl_add_u64 v[6:7], v[2:3], 0, s[14:15]
	s_mov_b32 s16, 0
	v_mov_b32_e32 v8, 33
	v_mov_b32_e32 v9, v39
	;; [unrolled: 1-line block ×4, first 2 shown]
	v_readfirstlane_b32 s14, v6
	v_readfirstlane_b32 s15, v7
	s_mov_b32 s17, s16
	s_mov_b32 s18, s16
	s_mov_b32 s19, s16
	s_nop 1
	global_store_dwordx4 v38, v[8:11], s[14:15]
	s_nop 1
	v_mov_b64_e32 v[8:9], s[16:17]
	v_mov_b64_e32 v[10:11], s[18:19]
	global_store_dwordx4 v38, v[8:11], s[14:15] offset:16
	global_store_dwordx4 v38, v[8:11], s[14:15] offset:32
	global_store_dwordx4 v38, v[8:11], s[14:15] offset:48
	s_and_saveexec_b64 s[14:15], s[0:1]
	s_cbranch_execz .LBB4_440
; %bb.433:
	v_mov_b32_e32 v10, 0
	global_load_dwordx2 v[14:15], v10, s[24:25] offset:32 sc0 sc1
	global_load_dwordx2 v[2:3], v10, s[24:25] offset:40
	v_mov_b32_e32 v12, s12
	v_mov_b32_e32 v13, s13
	s_waitcnt vmcnt(0)
	v_readfirstlane_b32 s16, v2
	v_readfirstlane_b32 s17, v3
	s_and_b64 s[16:17], s[16:17], s[12:13]
	s_mul_i32 s7, s17, 24
	s_mul_hi_u32 s17, s16, 24
	s_mul_i32 s16, s16, 24
	s_add_i32 s17, s17, s7
	v_lshl_add_u64 v[8:9], v[0:1], 0, s[16:17]
	global_store_dwordx2 v[8:9], v[14:15], off
	buffer_wbl2 sc0 sc1
	s_waitcnt vmcnt(0)
	global_atomic_cmpswap_x2 v[2:3], v10, v[12:15], s[24:25] offset:32 sc0 sc1
	s_waitcnt vmcnt(0)
	v_cmp_ne_u64_e32 vcc, v[2:3], v[14:15]
	s_and_saveexec_b64 s[16:17], vcc
	s_cbranch_execz .LBB4_436
; %bb.434:
	s_mov_b64 s[18:19], 0
.LBB4_435:                              ; =>This Inner Loop Header: Depth=1
	s_sleep 1
	global_store_dwordx2 v[8:9], v[2:3], off
	v_mov_b32_e32 v0, s12
	v_mov_b32_e32 v1, s13
	buffer_wbl2 sc0 sc1
	s_waitcnt vmcnt(0)
	global_atomic_cmpswap_x2 v[0:1], v10, v[0:3], s[24:25] offset:32 sc0 sc1
	s_waitcnt vmcnt(0)
	v_cmp_eq_u64_e32 vcc, v[0:1], v[2:3]
	s_or_b64 s[18:19], vcc, s[18:19]
	v_mov_b64_e32 v[2:3], v[0:1]
	s_andn2_b64 exec, exec, s[18:19]
	s_cbranch_execnz .LBB4_435
.LBB4_436:
	s_or_b64 exec, exec, s[16:17]
	v_mov_b32_e32 v3, 0
	global_load_dwordx2 v[0:1], v3, s[24:25] offset:16
	s_mov_b64 s[16:17], exec
	v_mbcnt_lo_u32_b32 v2, s16, 0
	v_mbcnt_hi_u32_b32 v2, s17, v2
	v_cmp_eq_u32_e32 vcc, 0, v2
	s_and_saveexec_b64 s[18:19], vcc
	s_cbranch_execz .LBB4_438
; %bb.437:
	s_bcnt1_i32_b64 s7, s[16:17]
	v_mov_b32_e32 v2, s7
	buffer_wbl2 sc0 sc1
	s_waitcnt vmcnt(0)
	global_atomic_add_x2 v[0:1], v[2:3], off offset:8 sc1
.LBB4_438:
	s_or_b64 exec, exec, s[18:19]
	s_waitcnt vmcnt(0)
	global_load_dwordx2 v[2:3], v[0:1], off offset:16
	s_waitcnt vmcnt(0)
	v_cmp_eq_u64_e32 vcc, 0, v[2:3]
	s_cbranch_vccnz .LBB4_440
; %bb.439:
	global_load_dword v0, v[0:1], off offset:24
	v_mov_b32_e32 v1, 0
	buffer_wbl2 sc0 sc1
	s_waitcnt vmcnt(0)
	global_store_dwordx2 v[2:3], v[0:1], off sc0 sc1
	v_and_b32_e32 v0, 0xffffff, v0
	s_nop 0
	v_readfirstlane_b32 m0, v0
	s_sendmsg sendmsg(MSG_INTERRUPT)
.LBB4_440:
	s_or_b64 exec, exec, s[14:15]
	v_lshl_add_u64 v[0:1], v[6:7], 0, v[38:39]
	s_branch .LBB4_444
.LBB4_441:                              ;   in Loop: Header=BB4_444 Depth=1
	s_or_b64 exec, exec, s[14:15]
	v_readfirstlane_b32 s7, v2
	s_cmp_eq_u32 s7, 0
	s_cbranch_scc1 .LBB4_443
; %bb.442:                              ;   in Loop: Header=BB4_444 Depth=1
	s_sleep 1
	s_cbranch_execnz .LBB4_444
	s_branch .LBB4_446
.LBB4_443:
	s_branch .LBB4_446
.LBB4_444:                              ; =>This Inner Loop Header: Depth=1
	v_mov_b32_e32 v2, 1
	s_and_saveexec_b64 s[14:15], s[0:1]
	s_cbranch_execz .LBB4_441
; %bb.445:                              ;   in Loop: Header=BB4_444 Depth=1
	global_load_dword v2, v[4:5], off offset:20 sc0 sc1
	s_waitcnt vmcnt(0)
	buffer_inv sc0 sc1
	v_and_b32_e32 v2, 1, v2
	s_branch .LBB4_441
.LBB4_446:
	global_load_dwordx2 v[4:5], v[0:1], off
	s_and_saveexec_b64 s[14:15], s[0:1]
	s_cbranch_execz .LBB4_449
; %bb.447:
	v_mov_b32_e32 v8, 0
	global_load_dwordx2 v[6:7], v8, s[24:25] offset:40
	global_load_dwordx2 v[10:11], v8, s[24:25] offset:24 sc0 sc1
	global_load_dwordx2 v[12:13], v8, s[24:25]
	s_mov_b64 s[0:1], 0
	s_waitcnt vmcnt(2)
	v_lshl_add_u64 v[0:1], v[6:7], 0, 1
	v_lshl_add_u64 v[14:15], v[0:1], 0, s[12:13]
	v_cmp_eq_u64_e32 vcc, 0, v[14:15]
	s_waitcnt vmcnt(1)
	v_mov_b32_e32 v2, v10
	v_cndmask_b32_e32 v1, v15, v1, vcc
	v_cndmask_b32_e32 v0, v14, v0, vcc
	v_and_b32_e32 v3, v1, v7
	v_and_b32_e32 v6, v0, v6
	v_mul_lo_u32 v3, v3, 24
	v_mul_hi_u32 v7, v6, 24
	v_mul_lo_u32 v6, v6, 24
	v_add_u32_e32 v7, v7, v3
	s_waitcnt vmcnt(0)
	v_lshl_add_u64 v[6:7], v[12:13], 0, v[6:7]
	global_store_dwordx2 v[6:7], v[10:11], off
	v_mov_b32_e32 v3, v11
	buffer_wbl2 sc0 sc1
	s_waitcnt vmcnt(0)
	global_atomic_cmpswap_x2 v[2:3], v8, v[0:3], s[24:25] offset:24 sc0 sc1
	s_waitcnt vmcnt(0)
	v_cmp_ne_u64_e32 vcc, v[2:3], v[10:11]
	s_and_b64 exec, exec, vcc
	s_cbranch_execz .LBB4_449
.LBB4_448:                              ; =>This Inner Loop Header: Depth=1
	s_sleep 1
	global_store_dwordx2 v[6:7], v[2:3], off
	buffer_wbl2 sc0 sc1
	s_waitcnt vmcnt(0)
	global_atomic_cmpswap_x2 v[10:11], v8, v[0:3], s[24:25] offset:24 sc0 sc1
	s_waitcnt vmcnt(0)
	v_cmp_eq_u64_e32 vcc, v[10:11], v[2:3]
	s_or_b64 s[0:1], vcc, s[0:1]
	v_mov_b64_e32 v[2:3], v[10:11]
	s_andn2_b64 exec, exec, s[0:1]
	s_cbranch_execnz .LBB4_448
.LBB4_449:
	s_or_b64 exec, exec, s[14:15]
	s_and_b64 vcc, exec, s[10:11]
	s_cbranch_vccz .LBB4_534
; %bb.450:
	s_waitcnt vmcnt(0)
	v_and_b32_e32 v26, 2, v4
	v_mov_b32_e32 v29, 0
	v_and_b32_e32 v0, -3, v4
	v_mov_b32_e32 v1, v5
	s_mov_b64 s[14:15], 3
	v_mov_b32_e32 v8, 2
	v_mov_b32_e32 v9, 1
	s_getpc_b64 s[12:13]
	s_add_u32 s12, s12, .str.5@rel32@lo+4
	s_addc_u32 s13, s13, .str.5@rel32@hi+12
	s_branch .LBB4_452
.LBB4_451:                              ;   in Loop: Header=BB4_452 Depth=1
	s_or_b64 exec, exec, s[20:21]
	s_sub_u32 s14, s14, s16
	s_subb_u32 s15, s15, s17
	s_add_u32 s12, s12, s16
	s_addc_u32 s13, s13, s17
	s_cmp_lg_u64 s[14:15], 0
	s_cbranch_scc0 .LBB4_533
.LBB4_452:                              ; =>This Loop Header: Depth=1
                                        ;     Child Loop BB4_455 Depth 2
                                        ;     Child Loop BB4_462 Depth 2
	;; [unrolled: 1-line block ×11, first 2 shown]
	v_cmp_lt_u64_e64 s[0:1], s[14:15], 56
	s_and_b64 s[0:1], s[0:1], exec
	v_cmp_gt_u64_e64 s[0:1], s[14:15], 7
	s_cselect_b32 s17, s15, 0
	s_cselect_b32 s16, s14, 56
	s_and_b64 vcc, exec, s[0:1]
	s_cbranch_vccnz .LBB4_457
; %bb.453:                              ;   in Loop: Header=BB4_452 Depth=1
	s_mov_b64 s[0:1], 0
	s_cmp_eq_u64 s[14:15], 0
	s_waitcnt vmcnt(0)
	v_mov_b64_e32 v[2:3], 0
	s_cbranch_scc1 .LBB4_456
; %bb.454:                              ;   in Loop: Header=BB4_452 Depth=1
	s_lshl_b64 s[18:19], s[16:17], 3
	s_mov_b64 s[20:21], 0
	v_mov_b64_e32 v[2:3], 0
	s_mov_b64 s[28:29], s[12:13]
.LBB4_455:                              ;   Parent Loop BB4_452 Depth=1
                                        ; =>  This Inner Loop Header: Depth=2
	global_load_ubyte v6, v29, s[28:29]
	s_waitcnt vmcnt(0)
	v_and_b32_e32 v28, 0xffff, v6
	v_lshlrev_b64 v[6:7], s20, v[28:29]
	s_add_u32 s20, s20, 8
	s_addc_u32 s21, s21, 0
	s_add_u32 s28, s28, 1
	s_addc_u32 s29, s29, 0
	v_or_b32_e32 v2, v6, v2
	s_cmp_lg_u32 s18, s20
	v_or_b32_e32 v3, v7, v3
	s_cbranch_scc1 .LBB4_455
.LBB4_456:                              ;   in Loop: Header=BB4_452 Depth=1
	s_mov_b32 s7, 0
	s_andn2_b64 vcc, exec, s[0:1]
	s_mov_b64 s[0:1], s[12:13]
	s_cbranch_vccz .LBB4_458
	s_branch .LBB4_459
.LBB4_457:                              ;   in Loop: Header=BB4_452 Depth=1
                                        ; implicit-def: $vgpr2_vgpr3
                                        ; implicit-def: $sgpr7
	s_mov_b64 s[0:1], s[12:13]
.LBB4_458:                              ;   in Loop: Header=BB4_452 Depth=1
	global_load_dwordx2 v[2:3], v29, s[12:13]
	s_add_i32 s7, s16, -8
	s_add_u32 s0, s12, 8
	s_addc_u32 s1, s13, 0
.LBB4_459:                              ;   in Loop: Header=BB4_452 Depth=1
	s_cmp_gt_u32 s7, 7
	s_cbranch_scc1 .LBB4_463
; %bb.460:                              ;   in Loop: Header=BB4_452 Depth=1
	s_cmp_eq_u32 s7, 0
	s_cbranch_scc1 .LBB4_464
; %bb.461:                              ;   in Loop: Header=BB4_452 Depth=1
	s_mov_b64 s[18:19], 0
	v_mov_b64_e32 v[10:11], 0
	s_mov_b64 s[20:21], 0
.LBB4_462:                              ;   Parent Loop BB4_452 Depth=1
                                        ; =>  This Inner Loop Header: Depth=2
	s_add_u32 s28, s0, s20
	s_addc_u32 s29, s1, s21
	global_load_ubyte v6, v29, s[28:29]
	s_add_u32 s20, s20, 1
	s_addc_u32 s21, s21, 0
	s_waitcnt vmcnt(0)
	v_and_b32_e32 v28, 0xffff, v6
	v_lshlrev_b64 v[6:7], s18, v[28:29]
	s_add_u32 s18, s18, 8
	s_addc_u32 s19, s19, 0
	v_or_b32_e32 v10, v6, v10
	s_cmp_lg_u32 s7, s20
	v_or_b32_e32 v11, v7, v11
	s_cbranch_scc1 .LBB4_462
	s_branch .LBB4_465
.LBB4_463:                              ;   in Loop: Header=BB4_452 Depth=1
                                        ; implicit-def: $vgpr10_vgpr11
                                        ; implicit-def: $sgpr28
	s_branch .LBB4_466
.LBB4_464:                              ;   in Loop: Header=BB4_452 Depth=1
	v_mov_b64_e32 v[10:11], 0
.LBB4_465:                              ;   in Loop: Header=BB4_452 Depth=1
	s_mov_b32 s28, 0
	s_cbranch_execnz .LBB4_467
.LBB4_466:                              ;   in Loop: Header=BB4_452 Depth=1
	global_load_dwordx2 v[10:11], v29, s[0:1]
	s_add_i32 s28, s7, -8
	s_add_u32 s0, s0, 8
	s_addc_u32 s1, s1, 0
.LBB4_467:                              ;   in Loop: Header=BB4_452 Depth=1
	s_cmp_gt_u32 s28, 7
	s_cbranch_scc1 .LBB4_471
; %bb.468:                              ;   in Loop: Header=BB4_452 Depth=1
	s_cmp_eq_u32 s28, 0
	s_cbranch_scc1 .LBB4_472
; %bb.469:                              ;   in Loop: Header=BB4_452 Depth=1
	s_mov_b64 s[18:19], 0
	v_mov_b64_e32 v[12:13], 0
	s_mov_b64 s[20:21], 0
.LBB4_470:                              ;   Parent Loop BB4_452 Depth=1
                                        ; =>  This Inner Loop Header: Depth=2
	s_add_u32 s30, s0, s20
	s_addc_u32 s31, s1, s21
	global_load_ubyte v6, v29, s[30:31]
	s_add_u32 s20, s20, 1
	s_addc_u32 s21, s21, 0
	s_waitcnt vmcnt(0)
	v_and_b32_e32 v28, 0xffff, v6
	v_lshlrev_b64 v[6:7], s18, v[28:29]
	s_add_u32 s18, s18, 8
	s_addc_u32 s19, s19, 0
	v_or_b32_e32 v12, v6, v12
	s_cmp_lg_u32 s28, s20
	v_or_b32_e32 v13, v7, v13
	s_cbranch_scc1 .LBB4_470
	s_branch .LBB4_473
.LBB4_471:                              ;   in Loop: Header=BB4_452 Depth=1
                                        ; implicit-def: $sgpr7
	s_branch .LBB4_474
.LBB4_472:                              ;   in Loop: Header=BB4_452 Depth=1
	v_mov_b64_e32 v[12:13], 0
.LBB4_473:                              ;   in Loop: Header=BB4_452 Depth=1
	s_mov_b32 s7, 0
	s_cbranch_execnz .LBB4_475
.LBB4_474:                              ;   in Loop: Header=BB4_452 Depth=1
	global_load_dwordx2 v[12:13], v29, s[0:1]
	s_add_i32 s7, s28, -8
	s_add_u32 s0, s0, 8
	s_addc_u32 s1, s1, 0
.LBB4_475:                              ;   in Loop: Header=BB4_452 Depth=1
	s_cmp_gt_u32 s7, 7
	s_cbranch_scc1 .LBB4_479
; %bb.476:                              ;   in Loop: Header=BB4_452 Depth=1
	s_cmp_eq_u32 s7, 0
	s_cbranch_scc1 .LBB4_480
; %bb.477:                              ;   in Loop: Header=BB4_452 Depth=1
	s_mov_b64 s[18:19], 0
	v_mov_b64_e32 v[14:15], 0
	s_mov_b64 s[20:21], 0
.LBB4_478:                              ;   Parent Loop BB4_452 Depth=1
                                        ; =>  This Inner Loop Header: Depth=2
	s_add_u32 s28, s0, s20
	s_addc_u32 s29, s1, s21
	global_load_ubyte v6, v29, s[28:29]
	s_add_u32 s20, s20, 1
	s_addc_u32 s21, s21, 0
	s_waitcnt vmcnt(0)
	v_and_b32_e32 v28, 0xffff, v6
	v_lshlrev_b64 v[6:7], s18, v[28:29]
	s_add_u32 s18, s18, 8
	s_addc_u32 s19, s19, 0
	v_or_b32_e32 v14, v6, v14
	s_cmp_lg_u32 s7, s20
	v_or_b32_e32 v15, v7, v15
	s_cbranch_scc1 .LBB4_478
	s_branch .LBB4_481
.LBB4_479:                              ;   in Loop: Header=BB4_452 Depth=1
                                        ; implicit-def: $vgpr14_vgpr15
                                        ; implicit-def: $sgpr28
	s_branch .LBB4_482
.LBB4_480:                              ;   in Loop: Header=BB4_452 Depth=1
	v_mov_b64_e32 v[14:15], 0
.LBB4_481:                              ;   in Loop: Header=BB4_452 Depth=1
	s_mov_b32 s28, 0
	s_cbranch_execnz .LBB4_483
.LBB4_482:                              ;   in Loop: Header=BB4_452 Depth=1
	global_load_dwordx2 v[14:15], v29, s[0:1]
	s_add_i32 s28, s7, -8
	s_add_u32 s0, s0, 8
	s_addc_u32 s1, s1, 0
.LBB4_483:                              ;   in Loop: Header=BB4_452 Depth=1
	s_cmp_gt_u32 s28, 7
	s_cbranch_scc1 .LBB4_487
; %bb.484:                              ;   in Loop: Header=BB4_452 Depth=1
	s_cmp_eq_u32 s28, 0
	s_cbranch_scc1 .LBB4_488
; %bb.485:                              ;   in Loop: Header=BB4_452 Depth=1
	s_mov_b64 s[18:19], 0
	v_mov_b64_e32 v[16:17], 0
	s_mov_b64 s[20:21], 0
.LBB4_486:                              ;   Parent Loop BB4_452 Depth=1
                                        ; =>  This Inner Loop Header: Depth=2
	s_add_u32 s30, s0, s20
	s_addc_u32 s31, s1, s21
	global_load_ubyte v6, v29, s[30:31]
	s_add_u32 s20, s20, 1
	s_addc_u32 s21, s21, 0
	s_waitcnt vmcnt(0)
	v_and_b32_e32 v28, 0xffff, v6
	v_lshlrev_b64 v[6:7], s18, v[28:29]
	s_add_u32 s18, s18, 8
	s_addc_u32 s19, s19, 0
	v_or_b32_e32 v16, v6, v16
	s_cmp_lg_u32 s28, s20
	v_or_b32_e32 v17, v7, v17
	s_cbranch_scc1 .LBB4_486
	s_branch .LBB4_489
.LBB4_487:                              ;   in Loop: Header=BB4_452 Depth=1
                                        ; implicit-def: $sgpr7
	s_branch .LBB4_490
.LBB4_488:                              ;   in Loop: Header=BB4_452 Depth=1
	v_mov_b64_e32 v[16:17], 0
.LBB4_489:                              ;   in Loop: Header=BB4_452 Depth=1
	s_mov_b32 s7, 0
	s_cbranch_execnz .LBB4_491
.LBB4_490:                              ;   in Loop: Header=BB4_452 Depth=1
	global_load_dwordx2 v[16:17], v29, s[0:1]
	s_add_i32 s7, s28, -8
	s_add_u32 s0, s0, 8
	s_addc_u32 s1, s1, 0
.LBB4_491:                              ;   in Loop: Header=BB4_452 Depth=1
	s_cmp_gt_u32 s7, 7
	s_cbranch_scc1 .LBB4_495
; %bb.492:                              ;   in Loop: Header=BB4_452 Depth=1
	s_cmp_eq_u32 s7, 0
	s_cbranch_scc1 .LBB4_496
; %bb.493:                              ;   in Loop: Header=BB4_452 Depth=1
	s_mov_b64 s[18:19], 0
	v_mov_b64_e32 v[18:19], 0
	s_mov_b64 s[20:21], 0
.LBB4_494:                              ;   Parent Loop BB4_452 Depth=1
                                        ; =>  This Inner Loop Header: Depth=2
	s_add_u32 s28, s0, s20
	s_addc_u32 s29, s1, s21
	global_load_ubyte v6, v29, s[28:29]
	s_add_u32 s20, s20, 1
	s_addc_u32 s21, s21, 0
	s_waitcnt vmcnt(0)
	v_and_b32_e32 v28, 0xffff, v6
	v_lshlrev_b64 v[6:7], s18, v[28:29]
	s_add_u32 s18, s18, 8
	s_addc_u32 s19, s19, 0
	v_or_b32_e32 v18, v6, v18
	s_cmp_lg_u32 s7, s20
	v_or_b32_e32 v19, v7, v19
	s_cbranch_scc1 .LBB4_494
	s_branch .LBB4_497
.LBB4_495:                              ;   in Loop: Header=BB4_452 Depth=1
                                        ; implicit-def: $vgpr18_vgpr19
                                        ; implicit-def: $sgpr28
	s_branch .LBB4_498
.LBB4_496:                              ;   in Loop: Header=BB4_452 Depth=1
	v_mov_b64_e32 v[18:19], 0
.LBB4_497:                              ;   in Loop: Header=BB4_452 Depth=1
	s_mov_b32 s28, 0
	s_cbranch_execnz .LBB4_499
.LBB4_498:                              ;   in Loop: Header=BB4_452 Depth=1
	global_load_dwordx2 v[18:19], v29, s[0:1]
	s_add_i32 s28, s7, -8
	s_add_u32 s0, s0, 8
	s_addc_u32 s1, s1, 0
.LBB4_499:                              ;   in Loop: Header=BB4_452 Depth=1
	s_cmp_gt_u32 s28, 7
	s_cbranch_scc1 .LBB4_503
; %bb.500:                              ;   in Loop: Header=BB4_452 Depth=1
	s_cmp_eq_u32 s28, 0
	s_cbranch_scc1 .LBB4_504
; %bb.501:                              ;   in Loop: Header=BB4_452 Depth=1
	s_mov_b64 s[18:19], 0
	v_mov_b64_e32 v[20:21], 0
	s_mov_b64 s[20:21], s[0:1]
.LBB4_502:                              ;   Parent Loop BB4_452 Depth=1
                                        ; =>  This Inner Loop Header: Depth=2
	global_load_ubyte v6, v29, s[20:21]
	s_add_i32 s28, s28, -1
	s_waitcnt vmcnt(0)
	v_and_b32_e32 v28, 0xffff, v6
	v_lshlrev_b64 v[6:7], s18, v[28:29]
	s_add_u32 s18, s18, 8
	s_addc_u32 s19, s19, 0
	s_add_u32 s20, s20, 1
	s_addc_u32 s21, s21, 0
	v_or_b32_e32 v20, v6, v20
	s_cmp_lg_u32 s28, 0
	v_or_b32_e32 v21, v7, v21
	s_cbranch_scc1 .LBB4_502
	s_branch .LBB4_505
.LBB4_503:                              ;   in Loop: Header=BB4_452 Depth=1
	s_branch .LBB4_506
.LBB4_504:                              ;   in Loop: Header=BB4_452 Depth=1
	v_mov_b64_e32 v[20:21], 0
.LBB4_505:                              ;   in Loop: Header=BB4_452 Depth=1
	s_cbranch_execnz .LBB4_507
.LBB4_506:                              ;   in Loop: Header=BB4_452 Depth=1
	global_load_dwordx2 v[20:21], v29, s[0:1]
.LBB4_507:                              ;   in Loop: Header=BB4_452 Depth=1
	v_readfirstlane_b32 s0, v37
	v_mov_b64_e32 v[6:7], 0
	s_nop 0
	v_cmp_eq_u32_e64 s[0:1], s0, v37
	s_and_saveexec_b64 s[18:19], s[0:1]
	s_cbranch_execz .LBB4_513
; %bb.508:                              ;   in Loop: Header=BB4_452 Depth=1
	global_load_dwordx2 v[24:25], v29, s[24:25] offset:24 sc0 sc1
	s_waitcnt vmcnt(0)
	buffer_inv sc0 sc1
	global_load_dwordx2 v[6:7], v29, s[24:25] offset:40
	global_load_dwordx2 v[22:23], v29, s[24:25]
	s_waitcnt vmcnt(1)
	v_and_b32_e32 v6, v6, v24
	v_and_b32_e32 v7, v7, v25
	v_mul_lo_u32 v7, v7, 24
	v_mul_hi_u32 v27, v6, 24
	v_add_u32_e32 v7, v27, v7
	v_mul_lo_u32 v6, v6, 24
	s_waitcnt vmcnt(0)
	v_lshl_add_u64 v[6:7], v[22:23], 0, v[6:7]
	global_load_dwordx2 v[22:23], v[6:7], off sc0 sc1
	s_waitcnt vmcnt(0)
	global_atomic_cmpswap_x2 v[6:7], v29, v[22:25], s[24:25] offset:24 sc0 sc1
	s_waitcnt vmcnt(0)
	buffer_inv sc0 sc1
	v_cmp_ne_u64_e32 vcc, v[6:7], v[24:25]
	s_and_saveexec_b64 s[20:21], vcc
	s_cbranch_execz .LBB4_512
; %bb.509:                              ;   in Loop: Header=BB4_452 Depth=1
	s_mov_b64 s[28:29], 0
.LBB4_510:                              ;   Parent Loop BB4_452 Depth=1
                                        ; =>  This Inner Loop Header: Depth=2
	s_sleep 1
	global_load_dwordx2 v[22:23], v29, s[24:25] offset:40
	global_load_dwordx2 v[30:31], v29, s[24:25]
	v_mov_b64_e32 v[24:25], v[6:7]
	s_waitcnt vmcnt(1)
	v_and_b32_e32 v6, v22, v24
	s_waitcnt vmcnt(0)
	v_mad_u64_u32 v[6:7], s[30:31], v6, 24, v[30:31]
	v_and_b32_e32 v23, v23, v25
	v_mov_b32_e32 v22, v7
	v_mad_u64_u32 v[22:23], s[30:31], v23, 24, v[22:23]
	v_mov_b32_e32 v7, v22
	global_load_dwordx2 v[22:23], v[6:7], off sc0 sc1
	s_waitcnt vmcnt(0)
	global_atomic_cmpswap_x2 v[6:7], v29, v[22:25], s[24:25] offset:24 sc0 sc1
	s_waitcnt vmcnt(0)
	buffer_inv sc0 sc1
	v_cmp_eq_u64_e32 vcc, v[6:7], v[24:25]
	s_or_b64 s[28:29], vcc, s[28:29]
	s_andn2_b64 exec, exec, s[28:29]
	s_cbranch_execnz .LBB4_510
; %bb.511:                              ;   in Loop: Header=BB4_452 Depth=1
	s_or_b64 exec, exec, s[28:29]
.LBB4_512:                              ;   in Loop: Header=BB4_452 Depth=1
	s_or_b64 exec, exec, s[20:21]
.LBB4_513:                              ;   in Loop: Header=BB4_452 Depth=1
	s_or_b64 exec, exec, s[18:19]
	global_load_dwordx2 v[30:31], v29, s[24:25] offset:40
	global_load_dwordx4 v[22:25], v29, s[24:25]
	v_readfirstlane_b32 s18, v6
	v_readfirstlane_b32 s19, v7
	s_mov_b64 s[20:21], exec
	s_waitcnt vmcnt(1)
	v_readfirstlane_b32 s28, v30
	v_readfirstlane_b32 s29, v31
	s_and_b64 s[28:29], s[18:19], s[28:29]
	s_mul_i32 s7, s29, 24
	s_mul_hi_u32 s30, s28, 24
	s_add_i32 s31, s30, s7
	s_mul_i32 s30, s28, 24
	s_waitcnt vmcnt(0)
	v_lshl_add_u64 v[30:31], v[22:23], 0, s[30:31]
	s_and_saveexec_b64 s[30:31], s[0:1]
	s_cbranch_execz .LBB4_515
; %bb.514:                              ;   in Loop: Header=BB4_452 Depth=1
	v_mov_b64_e32 v[6:7], s[20:21]
	global_store_dwordx4 v[30:31], v[6:9], off offset:8
.LBB4_515:                              ;   in Loop: Header=BB4_452 Depth=1
	s_or_b64 exec, exec, s[30:31]
	s_lshl_b64 s[20:21], s[28:29], 12
	v_lshl_add_u64 v[6:7], v[24:25], 0, s[20:21]
	v_or_b32_e32 v25, v0, v26
	v_cmp_gt_u64_e64 vcc, s[14:15], 56
	s_lshl_b32 s7, s16, 2
	s_add_i32 s7, s7, 28
	v_cndmask_b32_e32 v0, v25, v0, vcc
	v_or_b32_e32 v24, 0, v1
	s_and_b32 s7, s7, 0x1e0
	v_and_b32_e32 v0, 0xffffff1f, v0
	v_cndmask_b32_e32 v1, v24, v1, vcc
	v_or_b32_e32 v0, s7, v0
	v_readfirstlane_b32 s20, v6
	v_readfirstlane_b32 s21, v7
	s_nop 4
	global_store_dwordx4 v38, v[0:3], s[20:21]
	global_store_dwordx4 v38, v[10:13], s[20:21] offset:16
	global_store_dwordx4 v38, v[14:17], s[20:21] offset:32
	;; [unrolled: 1-line block ×3, first 2 shown]
	s_and_saveexec_b64 s[20:21], s[0:1]
	s_cbranch_execz .LBB4_523
; %bb.516:                              ;   in Loop: Header=BB4_452 Depth=1
	global_load_dwordx2 v[14:15], v29, s[24:25] offset:32 sc0 sc1
	global_load_dwordx2 v[0:1], v29, s[24:25] offset:40
	v_mov_b32_e32 v12, s18
	v_mov_b32_e32 v13, s19
	s_waitcnt vmcnt(0)
	v_readfirstlane_b32 s28, v0
	v_readfirstlane_b32 s29, v1
	s_and_b64 s[28:29], s[28:29], s[18:19]
	s_mul_i32 s7, s29, 24
	s_mul_hi_u32 s29, s28, 24
	s_mul_i32 s28, s28, 24
	s_add_i32 s29, s29, s7
	v_lshl_add_u64 v[10:11], v[22:23], 0, s[28:29]
	global_store_dwordx2 v[10:11], v[14:15], off
	buffer_wbl2 sc0 sc1
	s_waitcnt vmcnt(0)
	global_atomic_cmpswap_x2 v[2:3], v29, v[12:15], s[24:25] offset:32 sc0 sc1
	s_waitcnt vmcnt(0)
	v_cmp_ne_u64_e32 vcc, v[2:3], v[14:15]
	s_and_saveexec_b64 s[28:29], vcc
	s_cbranch_execz .LBB4_519
; %bb.517:                              ;   in Loop: Header=BB4_452 Depth=1
	s_mov_b64 s[30:31], 0
.LBB4_518:                              ;   Parent Loop BB4_452 Depth=1
                                        ; =>  This Inner Loop Header: Depth=2
	s_sleep 1
	global_store_dwordx2 v[10:11], v[2:3], off
	v_mov_b32_e32 v0, s18
	v_mov_b32_e32 v1, s19
	buffer_wbl2 sc0 sc1
	s_waitcnt vmcnt(0)
	global_atomic_cmpswap_x2 v[0:1], v29, v[0:3], s[24:25] offset:32 sc0 sc1
	s_waitcnt vmcnt(0)
	v_cmp_eq_u64_e32 vcc, v[0:1], v[2:3]
	s_or_b64 s[30:31], vcc, s[30:31]
	v_mov_b64_e32 v[2:3], v[0:1]
	s_andn2_b64 exec, exec, s[30:31]
	s_cbranch_execnz .LBB4_518
.LBB4_519:                              ;   in Loop: Header=BB4_452 Depth=1
	s_or_b64 exec, exec, s[28:29]
	global_load_dwordx2 v[0:1], v29, s[24:25] offset:16
	s_mov_b64 s[30:31], exec
	v_mbcnt_lo_u32_b32 v2, s30, 0
	v_mbcnt_hi_u32_b32 v2, s31, v2
	v_cmp_eq_u32_e32 vcc, 0, v2
	s_and_saveexec_b64 s[28:29], vcc
	s_cbranch_execz .LBB4_521
; %bb.520:                              ;   in Loop: Header=BB4_452 Depth=1
	s_bcnt1_i32_b64 s7, s[30:31]
	v_mov_b32_e32 v28, s7
	buffer_wbl2 sc0 sc1
	s_waitcnt vmcnt(0)
	global_atomic_add_x2 v[0:1], v[28:29], off offset:8 sc1
.LBB4_521:                              ;   in Loop: Header=BB4_452 Depth=1
	s_or_b64 exec, exec, s[28:29]
	s_waitcnt vmcnt(0)
	global_load_dwordx2 v[2:3], v[0:1], off offset:16
	s_waitcnt vmcnt(0)
	v_cmp_eq_u64_e32 vcc, 0, v[2:3]
	s_cbranch_vccnz .LBB4_523
; %bb.522:                              ;   in Loop: Header=BB4_452 Depth=1
	global_load_dword v28, v[0:1], off offset:24
	s_waitcnt vmcnt(0)
	v_and_b32_e32 v0, 0xffffff, v28
	s_nop 0
	v_readfirstlane_b32 m0, v0
	buffer_wbl2 sc0 sc1
	global_store_dwordx2 v[2:3], v[28:29], off sc0 sc1
	s_sendmsg sendmsg(MSG_INTERRUPT)
.LBB4_523:                              ;   in Loop: Header=BB4_452 Depth=1
	s_or_b64 exec, exec, s[20:21]
	v_mov_b32_e32 v39, v29
	v_lshl_add_u64 v[0:1], v[6:7], 0, v[38:39]
	s_branch .LBB4_527
.LBB4_524:                              ;   in Loop: Header=BB4_527 Depth=2
	s_or_b64 exec, exec, s[20:21]
	v_readfirstlane_b32 s7, v2
	s_cmp_eq_u32 s7, 0
	s_cbranch_scc1 .LBB4_526
; %bb.525:                              ;   in Loop: Header=BB4_527 Depth=2
	s_sleep 1
	s_cbranch_execnz .LBB4_527
	s_branch .LBB4_529
.LBB4_526:                              ;   in Loop: Header=BB4_452 Depth=1
	s_branch .LBB4_529
.LBB4_527:                              ;   Parent Loop BB4_452 Depth=1
                                        ; =>  This Inner Loop Header: Depth=2
	v_mov_b32_e32 v2, 1
	s_and_saveexec_b64 s[20:21], s[0:1]
	s_cbranch_execz .LBB4_524
; %bb.528:                              ;   in Loop: Header=BB4_527 Depth=2
	global_load_dword v2, v[30:31], off offset:20 sc0 sc1
	s_waitcnt vmcnt(0)
	buffer_inv sc0 sc1
	v_and_b32_e32 v2, 1, v2
	s_branch .LBB4_524
.LBB4_529:                              ;   in Loop: Header=BB4_452 Depth=1
	global_load_dwordx4 v[0:3], v[0:1], off
	s_and_saveexec_b64 s[20:21], s[0:1]
	s_cbranch_execz .LBB4_451
; %bb.530:                              ;   in Loop: Header=BB4_452 Depth=1
	global_load_dwordx2 v[2:3], v29, s[24:25] offset:40
	global_load_dwordx2 v[6:7], v29, s[24:25] offset:24 sc0 sc1
	global_load_dwordx2 v[14:15], v29, s[24:25]
	s_waitcnt vmcnt(2)
	v_lshl_add_u64 v[10:11], v[2:3], 0, 1
	v_lshl_add_u64 v[16:17], v[10:11], 0, s[18:19]
	v_cmp_eq_u64_e32 vcc, 0, v[16:17]
	s_waitcnt vmcnt(1)
	v_mov_b32_e32 v12, v6
	v_cndmask_b32_e32 v11, v17, v11, vcc
	v_cndmask_b32_e32 v10, v16, v10, vcc
	v_and_b32_e32 v3, v11, v3
	v_and_b32_e32 v2, v10, v2
	v_mul_lo_u32 v3, v3, 24
	v_mul_hi_u32 v13, v2, 24
	v_mul_lo_u32 v2, v2, 24
	v_add_u32_e32 v3, v13, v3
	s_waitcnt vmcnt(0)
	v_lshl_add_u64 v[2:3], v[14:15], 0, v[2:3]
	global_store_dwordx2 v[2:3], v[6:7], off
	v_mov_b32_e32 v13, v7
	buffer_wbl2 sc0 sc1
	s_waitcnt vmcnt(0)
	global_atomic_cmpswap_x2 v[12:13], v29, v[10:13], s[24:25] offset:24 sc0 sc1
	s_waitcnt vmcnt(0)
	v_cmp_ne_u64_e32 vcc, v[12:13], v[6:7]
	s_and_b64 exec, exec, vcc
	s_cbranch_execz .LBB4_451
; %bb.531:                              ;   in Loop: Header=BB4_452 Depth=1
	s_mov_b64 s[0:1], 0
.LBB4_532:                              ;   Parent Loop BB4_452 Depth=1
                                        ; =>  This Inner Loop Header: Depth=2
	s_sleep 1
	global_store_dwordx2 v[2:3], v[12:13], off
	buffer_wbl2 sc0 sc1
	s_waitcnt vmcnt(0)
	global_atomic_cmpswap_x2 v[6:7], v29, v[10:13], s[24:25] offset:24 sc0 sc1
	s_waitcnt vmcnt(0)
	v_cmp_eq_u64_e32 vcc, v[6:7], v[12:13]
	s_or_b64 s[0:1], vcc, s[0:1]
	v_mov_b64_e32 v[12:13], v[6:7]
	s_andn2_b64 exec, exec, s[0:1]
	s_cbranch_execnz .LBB4_532
	s_branch .LBB4_451
.LBB4_533:
	s_branch .LBB4_561
.LBB4_534:
                                        ; implicit-def: $vgpr0_vgpr1
	s_cbranch_execz .LBB4_561
; %bb.535:
	v_readfirstlane_b32 s0, v37
	v_mov_b64_e32 v[6:7], 0
	s_nop 0
	v_cmp_eq_u32_e64 s[0:1], s0, v37
	s_and_saveexec_b64 s[12:13], s[0:1]
	s_cbranch_execz .LBB4_541
; %bb.536:
	s_waitcnt vmcnt(0)
	v_mov_b32_e32 v0, 0
	global_load_dwordx2 v[8:9], v0, s[24:25] offset:24 sc0 sc1
	s_waitcnt vmcnt(0)
	buffer_inv sc0 sc1
	global_load_dwordx2 v[2:3], v0, s[24:25] offset:40
	global_load_dwordx2 v[6:7], v0, s[24:25]
	s_waitcnt vmcnt(1)
	v_and_b32_e32 v1, v2, v8
	v_and_b32_e32 v2, v3, v9
	v_mul_lo_u32 v2, v2, 24
	v_mul_hi_u32 v3, v1, 24
	v_add_u32_e32 v3, v3, v2
	v_mul_lo_u32 v2, v1, 24
	s_waitcnt vmcnt(0)
	v_lshl_add_u64 v[2:3], v[6:7], 0, v[2:3]
	global_load_dwordx2 v[6:7], v[2:3], off sc0 sc1
	s_waitcnt vmcnt(0)
	global_atomic_cmpswap_x2 v[6:7], v0, v[6:9], s[24:25] offset:24 sc0 sc1
	s_waitcnt vmcnt(0)
	buffer_inv sc0 sc1
	v_cmp_ne_u64_e32 vcc, v[6:7], v[8:9]
	s_and_saveexec_b64 s[14:15], vcc
	s_cbranch_execz .LBB4_540
; %bb.537:
	s_mov_b64 s[16:17], 0
.LBB4_538:                              ; =>This Inner Loop Header: Depth=1
	s_sleep 1
	global_load_dwordx2 v[2:3], v0, s[24:25] offset:40
	global_load_dwordx2 v[10:11], v0, s[24:25]
	v_mov_b64_e32 v[8:9], v[6:7]
	s_waitcnt vmcnt(1)
	v_and_b32_e32 v2, v2, v8
	v_and_b32_e32 v1, v3, v9
	s_waitcnt vmcnt(0)
	v_mad_u64_u32 v[2:3], s[18:19], v2, 24, v[10:11]
	v_mov_b32_e32 v6, v3
	v_mad_u64_u32 v[6:7], s[18:19], v1, 24, v[6:7]
	v_mov_b32_e32 v3, v6
	global_load_dwordx2 v[6:7], v[2:3], off sc0 sc1
	s_waitcnt vmcnt(0)
	global_atomic_cmpswap_x2 v[6:7], v0, v[6:9], s[24:25] offset:24 sc0 sc1
	s_waitcnt vmcnt(0)
	buffer_inv sc0 sc1
	v_cmp_eq_u64_e32 vcc, v[6:7], v[8:9]
	s_or_b64 s[16:17], vcc, s[16:17]
	s_andn2_b64 exec, exec, s[16:17]
	s_cbranch_execnz .LBB4_538
; %bb.539:
	s_or_b64 exec, exec, s[16:17]
.LBB4_540:
	s_or_b64 exec, exec, s[14:15]
.LBB4_541:
	s_or_b64 exec, exec, s[12:13]
	v_mov_b32_e32 v39, 0
	global_load_dwordx2 v[8:9], v39, s[24:25] offset:40
	global_load_dwordx4 v[0:3], v39, s[24:25]
	v_readfirstlane_b32 s12, v6
	v_readfirstlane_b32 s13, v7
	s_mov_b64 s[14:15], exec
	s_waitcnt vmcnt(1)
	v_readfirstlane_b32 s16, v8
	v_readfirstlane_b32 s17, v9
	s_and_b64 s[16:17], s[12:13], s[16:17]
	s_mul_i32 s7, s17, 24
	s_mul_hi_u32 s18, s16, 24
	s_add_i32 s19, s18, s7
	s_mul_i32 s18, s16, 24
	s_waitcnt vmcnt(0)
	v_lshl_add_u64 v[8:9], v[0:1], 0, s[18:19]
	s_and_saveexec_b64 s[18:19], s[0:1]
	s_cbranch_execz .LBB4_543
; %bb.542:
	v_mov_b64_e32 v[10:11], s[14:15]
	v_mov_b32_e32 v12, 2
	v_mov_b32_e32 v13, 1
	global_store_dwordx4 v[8:9], v[10:13], off offset:8
.LBB4_543:
	s_or_b64 exec, exec, s[18:19]
	s_lshl_b64 s[14:15], s[16:17], 12
	v_lshl_add_u64 v[10:11], v[2:3], 0, s[14:15]
	s_movk_i32 s7, 0xff1f
	s_mov_b32 s16, 0
	v_and_or_b32 v4, v4, s7, 32
	v_mov_b32_e32 v6, v39
	v_mov_b32_e32 v7, v39
	v_readfirstlane_b32 s14, v10
	v_readfirstlane_b32 s15, v11
	s_mov_b32 s17, s16
	s_mov_b32 s18, s16
	;; [unrolled: 1-line block ×3, first 2 shown]
	s_nop 1
	global_store_dwordx4 v38, v[4:7], s[14:15]
	v_mov_b64_e32 v[2:3], s[16:17]
	s_nop 0
	v_mov_b64_e32 v[4:5], s[18:19]
	global_store_dwordx4 v38, v[2:5], s[14:15] offset:16
	global_store_dwordx4 v38, v[2:5], s[14:15] offset:32
	;; [unrolled: 1-line block ×3, first 2 shown]
	s_and_saveexec_b64 s[14:15], s[0:1]
	s_cbranch_execz .LBB4_551
; %bb.544:
	v_mov_b32_e32 v6, 0
	global_load_dwordx2 v[14:15], v6, s[24:25] offset:32 sc0 sc1
	global_load_dwordx2 v[2:3], v6, s[24:25] offset:40
	v_mov_b32_e32 v12, s12
	v_mov_b32_e32 v13, s13
	s_waitcnt vmcnt(0)
	v_readfirstlane_b32 s16, v2
	v_readfirstlane_b32 s17, v3
	s_and_b64 s[16:17], s[16:17], s[12:13]
	s_mul_i32 s7, s17, 24
	s_mul_hi_u32 s17, s16, 24
	s_mul_i32 s16, s16, 24
	s_add_i32 s17, s17, s7
	v_lshl_add_u64 v[4:5], v[0:1], 0, s[16:17]
	global_store_dwordx2 v[4:5], v[14:15], off
	buffer_wbl2 sc0 sc1
	s_waitcnt vmcnt(0)
	global_atomic_cmpswap_x2 v[2:3], v6, v[12:15], s[24:25] offset:32 sc0 sc1
	s_waitcnt vmcnt(0)
	v_cmp_ne_u64_e32 vcc, v[2:3], v[14:15]
	s_and_saveexec_b64 s[16:17], vcc
	s_cbranch_execz .LBB4_547
; %bb.545:
	s_mov_b64 s[18:19], 0
.LBB4_546:                              ; =>This Inner Loop Header: Depth=1
	s_sleep 1
	global_store_dwordx2 v[4:5], v[2:3], off
	v_mov_b32_e32 v0, s12
	v_mov_b32_e32 v1, s13
	buffer_wbl2 sc0 sc1
	s_waitcnt vmcnt(0)
	global_atomic_cmpswap_x2 v[0:1], v6, v[0:3], s[24:25] offset:32 sc0 sc1
	s_waitcnt vmcnt(0)
	v_cmp_eq_u64_e32 vcc, v[0:1], v[2:3]
	s_or_b64 s[18:19], vcc, s[18:19]
	v_mov_b64_e32 v[2:3], v[0:1]
	s_andn2_b64 exec, exec, s[18:19]
	s_cbranch_execnz .LBB4_546
.LBB4_547:
	s_or_b64 exec, exec, s[16:17]
	v_mov_b32_e32 v3, 0
	global_load_dwordx2 v[0:1], v3, s[24:25] offset:16
	s_mov_b64 s[16:17], exec
	v_mbcnt_lo_u32_b32 v2, s16, 0
	v_mbcnt_hi_u32_b32 v2, s17, v2
	v_cmp_eq_u32_e32 vcc, 0, v2
	s_and_saveexec_b64 s[18:19], vcc
	s_cbranch_execz .LBB4_549
; %bb.548:
	s_bcnt1_i32_b64 s7, s[16:17]
	v_mov_b32_e32 v2, s7
	buffer_wbl2 sc0 sc1
	s_waitcnt vmcnt(0)
	global_atomic_add_x2 v[0:1], v[2:3], off offset:8 sc1
.LBB4_549:
	s_or_b64 exec, exec, s[18:19]
	s_waitcnt vmcnt(0)
	global_load_dwordx2 v[2:3], v[0:1], off offset:16
	s_waitcnt vmcnt(0)
	v_cmp_eq_u64_e32 vcc, 0, v[2:3]
	s_cbranch_vccnz .LBB4_551
; %bb.550:
	global_load_dword v0, v[0:1], off offset:24
	v_mov_b32_e32 v1, 0
	buffer_wbl2 sc0 sc1
	s_waitcnt vmcnt(0)
	global_store_dwordx2 v[2:3], v[0:1], off sc0 sc1
	v_and_b32_e32 v0, 0xffffff, v0
	s_nop 0
	v_readfirstlane_b32 m0, v0
	s_sendmsg sendmsg(MSG_INTERRUPT)
.LBB4_551:
	s_or_b64 exec, exec, s[14:15]
	v_lshl_add_u64 v[0:1], v[10:11], 0, v[38:39]
	s_branch .LBB4_555
.LBB4_552:                              ;   in Loop: Header=BB4_555 Depth=1
	s_or_b64 exec, exec, s[14:15]
	v_readfirstlane_b32 s7, v2
	s_cmp_eq_u32 s7, 0
	s_cbranch_scc1 .LBB4_554
; %bb.553:                              ;   in Loop: Header=BB4_555 Depth=1
	s_sleep 1
	s_cbranch_execnz .LBB4_555
	s_branch .LBB4_557
.LBB4_554:
	s_branch .LBB4_557
.LBB4_555:                              ; =>This Inner Loop Header: Depth=1
	v_mov_b32_e32 v2, 1
	s_and_saveexec_b64 s[14:15], s[0:1]
	s_cbranch_execz .LBB4_552
; %bb.556:                              ;   in Loop: Header=BB4_555 Depth=1
	global_load_dword v2, v[8:9], off offset:20 sc0 sc1
	s_waitcnt vmcnt(0)
	buffer_inv sc0 sc1
	v_and_b32_e32 v2, 1, v2
	s_branch .LBB4_552
.LBB4_557:
	global_load_dwordx2 v[0:1], v[0:1], off
	s_and_saveexec_b64 s[14:15], s[0:1]
	s_cbranch_execz .LBB4_560
; %bb.558:
	v_mov_b32_e32 v8, 0
	global_load_dwordx2 v[6:7], v8, s[24:25] offset:40
	global_load_dwordx2 v[10:11], v8, s[24:25] offset:24 sc0 sc1
	global_load_dwordx2 v[12:13], v8, s[24:25]
	s_mov_b64 s[0:1], 0
	s_waitcnt vmcnt(2)
	v_lshl_add_u64 v[2:3], v[6:7], 0, 1
	v_lshl_add_u64 v[14:15], v[2:3], 0, s[12:13]
	v_cmp_eq_u64_e32 vcc, 0, v[14:15]
	s_waitcnt vmcnt(1)
	v_mov_b32_e32 v4, v10
	v_cndmask_b32_e32 v3, v15, v3, vcc
	v_cndmask_b32_e32 v2, v14, v2, vcc
	v_and_b32_e32 v5, v3, v7
	v_and_b32_e32 v6, v2, v6
	v_mul_lo_u32 v5, v5, 24
	v_mul_hi_u32 v7, v6, 24
	v_mul_lo_u32 v6, v6, 24
	v_add_u32_e32 v7, v7, v5
	s_waitcnt vmcnt(0)
	v_lshl_add_u64 v[6:7], v[12:13], 0, v[6:7]
	global_store_dwordx2 v[6:7], v[10:11], off
	v_mov_b32_e32 v5, v11
	buffer_wbl2 sc0 sc1
	s_waitcnt vmcnt(0)
	global_atomic_cmpswap_x2 v[4:5], v8, v[2:5], s[24:25] offset:24 sc0 sc1
	s_waitcnt vmcnt(0)
	v_cmp_ne_u64_e32 vcc, v[4:5], v[10:11]
	s_and_b64 exec, exec, vcc
	s_cbranch_execz .LBB4_560
.LBB4_559:                              ; =>This Inner Loop Header: Depth=1
	s_sleep 1
	global_store_dwordx2 v[6:7], v[4:5], off
	buffer_wbl2 sc0 sc1
	s_waitcnt vmcnt(0)
	global_atomic_cmpswap_x2 v[10:11], v8, v[2:5], s[24:25] offset:24 sc0 sc1
	s_waitcnt vmcnt(0)
	v_cmp_eq_u64_e32 vcc, v[10:11], v[4:5]
	s_or_b64 s[0:1], vcc, s[0:1]
	v_mov_b64_e32 v[4:5], v[10:11]
	s_andn2_b64 exec, exec, s[0:1]
	s_cbranch_execnz .LBB4_559
.LBB4_560:
	s_or_b64 exec, exec, s[14:15]
.LBB4_561:
	s_getpc_b64 s[12:13]
	s_add_u32 s12, s12, .str.1@rel32@lo+4
	s_addc_u32 s13, s13, .str.1@rel32@hi+12
	s_cmp_lg_u64 s[12:13], 0
	s_cbranch_scc0 .LBB4_646
; %bb.562:
	s_waitcnt vmcnt(0)
	v_and_b32_e32 v6, -3, v0
	v_mov_b32_e32 v7, v1
	s_mov_b64 s[14:15], 0x53
	v_mov_b32_e32 v27, 0
	v_mov_b32_e32 v4, 2
	;; [unrolled: 1-line block ×3, first 2 shown]
	s_branch .LBB4_564
.LBB4_563:                              ;   in Loop: Header=BB4_564 Depth=1
	s_or_b64 exec, exec, s[20:21]
	s_sub_u32 s14, s14, s16
	s_subb_u32 s15, s15, s17
	s_add_u32 s12, s12, s16
	s_addc_u32 s13, s13, s17
	s_cmp_lg_u64 s[14:15], 0
	s_cbranch_scc0 .LBB4_645
.LBB4_564:                              ; =>This Loop Header: Depth=1
                                        ;     Child Loop BB4_567 Depth 2
                                        ;     Child Loop BB4_574 Depth 2
	;; [unrolled: 1-line block ×11, first 2 shown]
	v_cmp_lt_u64_e64 s[0:1], s[14:15], 56
	s_and_b64 s[0:1], s[0:1], exec
	v_cmp_gt_u64_e64 s[0:1], s[14:15], 7
	s_cselect_b32 s17, s15, 0
	s_cselect_b32 s16, s14, 56
	s_and_b64 vcc, exec, s[0:1]
	s_cbranch_vccnz .LBB4_569
; %bb.565:                              ;   in Loop: Header=BB4_564 Depth=1
	s_mov_b64 s[0:1], 0
	s_cmp_eq_u64 s[14:15], 0
	s_waitcnt vmcnt(0)
	v_mov_b64_e32 v[8:9], 0
	s_cbranch_scc1 .LBB4_568
; %bb.566:                              ;   in Loop: Header=BB4_564 Depth=1
	s_lshl_b64 s[18:19], s[16:17], 3
	s_mov_b64 s[20:21], 0
	v_mov_b64_e32 v[8:9], 0
	s_mov_b64 s[28:29], s[12:13]
.LBB4_567:                              ;   Parent Loop BB4_564 Depth=1
                                        ; =>  This Inner Loop Header: Depth=2
	global_load_ubyte v2, v27, s[28:29]
	s_waitcnt vmcnt(0)
	v_and_b32_e32 v26, 0xffff, v2
	v_lshlrev_b64 v[2:3], s20, v[26:27]
	s_add_u32 s20, s20, 8
	s_addc_u32 s21, s21, 0
	s_add_u32 s28, s28, 1
	s_addc_u32 s29, s29, 0
	v_or_b32_e32 v8, v2, v8
	s_cmp_lg_u32 s18, s20
	v_or_b32_e32 v9, v3, v9
	s_cbranch_scc1 .LBB4_567
.LBB4_568:                              ;   in Loop: Header=BB4_564 Depth=1
	s_mov_b32 s7, 0
	s_andn2_b64 vcc, exec, s[0:1]
	s_mov_b64 s[0:1], s[12:13]
	s_cbranch_vccz .LBB4_570
	s_branch .LBB4_571
.LBB4_569:                              ;   in Loop: Header=BB4_564 Depth=1
                                        ; implicit-def: $sgpr7
	s_mov_b64 s[0:1], s[12:13]
.LBB4_570:                              ;   in Loop: Header=BB4_564 Depth=1
	global_load_dwordx2 v[8:9], v27, s[12:13]
	s_add_i32 s7, s16, -8
	s_add_u32 s0, s12, 8
	s_addc_u32 s1, s13, 0
.LBB4_571:                              ;   in Loop: Header=BB4_564 Depth=1
	s_cmp_gt_u32 s7, 7
	s_cbranch_scc1 .LBB4_575
; %bb.572:                              ;   in Loop: Header=BB4_564 Depth=1
	s_cmp_eq_u32 s7, 0
	s_cbranch_scc1 .LBB4_576
; %bb.573:                              ;   in Loop: Header=BB4_564 Depth=1
	s_mov_b64 s[18:19], 0
	v_mov_b64_e32 v[10:11], 0
	s_mov_b64 s[20:21], 0
.LBB4_574:                              ;   Parent Loop BB4_564 Depth=1
                                        ; =>  This Inner Loop Header: Depth=2
	s_add_u32 s28, s0, s20
	s_addc_u32 s29, s1, s21
	global_load_ubyte v2, v27, s[28:29]
	s_add_u32 s20, s20, 1
	s_addc_u32 s21, s21, 0
	s_waitcnt vmcnt(0)
	v_and_b32_e32 v26, 0xffff, v2
	v_lshlrev_b64 v[2:3], s18, v[26:27]
	s_add_u32 s18, s18, 8
	s_addc_u32 s19, s19, 0
	v_or_b32_e32 v10, v2, v10
	s_cmp_lg_u32 s7, s20
	v_or_b32_e32 v11, v3, v11
	s_cbranch_scc1 .LBB4_574
	s_branch .LBB4_577
.LBB4_575:                              ;   in Loop: Header=BB4_564 Depth=1
                                        ; implicit-def: $vgpr10_vgpr11
                                        ; implicit-def: $sgpr28
	s_branch .LBB4_578
.LBB4_576:                              ;   in Loop: Header=BB4_564 Depth=1
	v_mov_b64_e32 v[10:11], 0
.LBB4_577:                              ;   in Loop: Header=BB4_564 Depth=1
	s_mov_b32 s28, 0
	s_cbranch_execnz .LBB4_579
.LBB4_578:                              ;   in Loop: Header=BB4_564 Depth=1
	global_load_dwordx2 v[10:11], v27, s[0:1]
	s_add_i32 s28, s7, -8
	s_add_u32 s0, s0, 8
	s_addc_u32 s1, s1, 0
.LBB4_579:                              ;   in Loop: Header=BB4_564 Depth=1
	s_cmp_gt_u32 s28, 7
	s_cbranch_scc1 .LBB4_583
; %bb.580:                              ;   in Loop: Header=BB4_564 Depth=1
	s_cmp_eq_u32 s28, 0
	s_cbranch_scc1 .LBB4_584
; %bb.581:                              ;   in Loop: Header=BB4_564 Depth=1
	s_mov_b64 s[18:19], 0
	v_mov_b64_e32 v[12:13], 0
	s_mov_b64 s[20:21], 0
.LBB4_582:                              ;   Parent Loop BB4_564 Depth=1
                                        ; =>  This Inner Loop Header: Depth=2
	s_add_u32 s30, s0, s20
	s_addc_u32 s31, s1, s21
	global_load_ubyte v2, v27, s[30:31]
	s_add_u32 s20, s20, 1
	s_addc_u32 s21, s21, 0
	s_waitcnt vmcnt(0)
	v_and_b32_e32 v26, 0xffff, v2
	v_lshlrev_b64 v[2:3], s18, v[26:27]
	s_add_u32 s18, s18, 8
	s_addc_u32 s19, s19, 0
	v_or_b32_e32 v12, v2, v12
	s_cmp_lg_u32 s28, s20
	v_or_b32_e32 v13, v3, v13
	s_cbranch_scc1 .LBB4_582
	s_branch .LBB4_585
.LBB4_583:                              ;   in Loop: Header=BB4_564 Depth=1
                                        ; implicit-def: $sgpr7
	s_branch .LBB4_586
.LBB4_584:                              ;   in Loop: Header=BB4_564 Depth=1
	v_mov_b64_e32 v[12:13], 0
.LBB4_585:                              ;   in Loop: Header=BB4_564 Depth=1
	s_mov_b32 s7, 0
	s_cbranch_execnz .LBB4_587
.LBB4_586:                              ;   in Loop: Header=BB4_564 Depth=1
	global_load_dwordx2 v[12:13], v27, s[0:1]
	s_add_i32 s7, s28, -8
	s_add_u32 s0, s0, 8
	s_addc_u32 s1, s1, 0
.LBB4_587:                              ;   in Loop: Header=BB4_564 Depth=1
	s_cmp_gt_u32 s7, 7
	s_cbranch_scc1 .LBB4_591
; %bb.588:                              ;   in Loop: Header=BB4_564 Depth=1
	s_cmp_eq_u32 s7, 0
	s_cbranch_scc1 .LBB4_592
; %bb.589:                              ;   in Loop: Header=BB4_564 Depth=1
	s_mov_b64 s[18:19], 0
	v_mov_b64_e32 v[14:15], 0
	s_mov_b64 s[20:21], 0
.LBB4_590:                              ;   Parent Loop BB4_564 Depth=1
                                        ; =>  This Inner Loop Header: Depth=2
	s_add_u32 s28, s0, s20
	s_addc_u32 s29, s1, s21
	global_load_ubyte v2, v27, s[28:29]
	s_add_u32 s20, s20, 1
	s_addc_u32 s21, s21, 0
	s_waitcnt vmcnt(0)
	v_and_b32_e32 v26, 0xffff, v2
	v_lshlrev_b64 v[2:3], s18, v[26:27]
	s_add_u32 s18, s18, 8
	s_addc_u32 s19, s19, 0
	v_or_b32_e32 v14, v2, v14
	s_cmp_lg_u32 s7, s20
	v_or_b32_e32 v15, v3, v15
	s_cbranch_scc1 .LBB4_590
	s_branch .LBB4_593
.LBB4_591:                              ;   in Loop: Header=BB4_564 Depth=1
                                        ; implicit-def: $vgpr14_vgpr15
                                        ; implicit-def: $sgpr28
	s_branch .LBB4_594
.LBB4_592:                              ;   in Loop: Header=BB4_564 Depth=1
	v_mov_b64_e32 v[14:15], 0
.LBB4_593:                              ;   in Loop: Header=BB4_564 Depth=1
	s_mov_b32 s28, 0
	s_cbranch_execnz .LBB4_595
.LBB4_594:                              ;   in Loop: Header=BB4_564 Depth=1
	global_load_dwordx2 v[14:15], v27, s[0:1]
	s_add_i32 s28, s7, -8
	s_add_u32 s0, s0, 8
	s_addc_u32 s1, s1, 0
.LBB4_595:                              ;   in Loop: Header=BB4_564 Depth=1
	s_cmp_gt_u32 s28, 7
	s_cbranch_scc1 .LBB4_599
; %bb.596:                              ;   in Loop: Header=BB4_564 Depth=1
	s_cmp_eq_u32 s28, 0
	s_cbranch_scc1 .LBB4_600
; %bb.597:                              ;   in Loop: Header=BB4_564 Depth=1
	s_mov_b64 s[18:19], 0
	v_mov_b64_e32 v[16:17], 0
	s_mov_b64 s[20:21], 0
.LBB4_598:                              ;   Parent Loop BB4_564 Depth=1
                                        ; =>  This Inner Loop Header: Depth=2
	s_add_u32 s30, s0, s20
	s_addc_u32 s31, s1, s21
	global_load_ubyte v2, v27, s[30:31]
	s_add_u32 s20, s20, 1
	s_addc_u32 s21, s21, 0
	s_waitcnt vmcnt(0)
	v_and_b32_e32 v26, 0xffff, v2
	v_lshlrev_b64 v[2:3], s18, v[26:27]
	s_add_u32 s18, s18, 8
	s_addc_u32 s19, s19, 0
	v_or_b32_e32 v16, v2, v16
	s_cmp_lg_u32 s28, s20
	v_or_b32_e32 v17, v3, v17
	s_cbranch_scc1 .LBB4_598
	s_branch .LBB4_601
.LBB4_599:                              ;   in Loop: Header=BB4_564 Depth=1
                                        ; implicit-def: $sgpr7
	s_branch .LBB4_602
.LBB4_600:                              ;   in Loop: Header=BB4_564 Depth=1
	v_mov_b64_e32 v[16:17], 0
.LBB4_601:                              ;   in Loop: Header=BB4_564 Depth=1
	s_mov_b32 s7, 0
	s_cbranch_execnz .LBB4_603
.LBB4_602:                              ;   in Loop: Header=BB4_564 Depth=1
	global_load_dwordx2 v[16:17], v27, s[0:1]
	s_add_i32 s7, s28, -8
	s_add_u32 s0, s0, 8
	s_addc_u32 s1, s1, 0
.LBB4_603:                              ;   in Loop: Header=BB4_564 Depth=1
	s_cmp_gt_u32 s7, 7
	s_cbranch_scc1 .LBB4_607
; %bb.604:                              ;   in Loop: Header=BB4_564 Depth=1
	s_cmp_eq_u32 s7, 0
	s_cbranch_scc1 .LBB4_608
; %bb.605:                              ;   in Loop: Header=BB4_564 Depth=1
	s_mov_b64 s[18:19], 0
	v_mov_b64_e32 v[18:19], 0
	s_mov_b64 s[20:21], 0
.LBB4_606:                              ;   Parent Loop BB4_564 Depth=1
                                        ; =>  This Inner Loop Header: Depth=2
	s_add_u32 s28, s0, s20
	s_addc_u32 s29, s1, s21
	global_load_ubyte v2, v27, s[28:29]
	s_add_u32 s20, s20, 1
	s_addc_u32 s21, s21, 0
	s_waitcnt vmcnt(0)
	v_and_b32_e32 v26, 0xffff, v2
	v_lshlrev_b64 v[2:3], s18, v[26:27]
	s_add_u32 s18, s18, 8
	s_addc_u32 s19, s19, 0
	v_or_b32_e32 v18, v2, v18
	s_cmp_lg_u32 s7, s20
	v_or_b32_e32 v19, v3, v19
	s_cbranch_scc1 .LBB4_606
	s_branch .LBB4_609
.LBB4_607:                              ;   in Loop: Header=BB4_564 Depth=1
                                        ; implicit-def: $vgpr18_vgpr19
                                        ; implicit-def: $sgpr28
	s_branch .LBB4_610
.LBB4_608:                              ;   in Loop: Header=BB4_564 Depth=1
	v_mov_b64_e32 v[18:19], 0
.LBB4_609:                              ;   in Loop: Header=BB4_564 Depth=1
	s_mov_b32 s28, 0
	s_cbranch_execnz .LBB4_611
.LBB4_610:                              ;   in Loop: Header=BB4_564 Depth=1
	global_load_dwordx2 v[18:19], v27, s[0:1]
	s_add_i32 s28, s7, -8
	s_add_u32 s0, s0, 8
	s_addc_u32 s1, s1, 0
.LBB4_611:                              ;   in Loop: Header=BB4_564 Depth=1
	s_cmp_gt_u32 s28, 7
	s_cbranch_scc1 .LBB4_615
; %bb.612:                              ;   in Loop: Header=BB4_564 Depth=1
	s_cmp_eq_u32 s28, 0
	s_cbranch_scc1 .LBB4_616
; %bb.613:                              ;   in Loop: Header=BB4_564 Depth=1
	s_mov_b64 s[18:19], 0
	v_mov_b64_e32 v[20:21], 0
	s_mov_b64 s[20:21], s[0:1]
.LBB4_614:                              ;   Parent Loop BB4_564 Depth=1
                                        ; =>  This Inner Loop Header: Depth=2
	global_load_ubyte v2, v27, s[20:21]
	s_add_i32 s28, s28, -1
	s_waitcnt vmcnt(0)
	v_and_b32_e32 v26, 0xffff, v2
	v_lshlrev_b64 v[2:3], s18, v[26:27]
	s_add_u32 s18, s18, 8
	s_addc_u32 s19, s19, 0
	s_add_u32 s20, s20, 1
	s_addc_u32 s21, s21, 0
	v_or_b32_e32 v20, v2, v20
	s_cmp_lg_u32 s28, 0
	v_or_b32_e32 v21, v3, v21
	s_cbranch_scc1 .LBB4_614
	s_branch .LBB4_617
.LBB4_615:                              ;   in Loop: Header=BB4_564 Depth=1
	s_branch .LBB4_618
.LBB4_616:                              ;   in Loop: Header=BB4_564 Depth=1
	v_mov_b64_e32 v[20:21], 0
.LBB4_617:                              ;   in Loop: Header=BB4_564 Depth=1
	s_cbranch_execnz .LBB4_619
.LBB4_618:                              ;   in Loop: Header=BB4_564 Depth=1
	global_load_dwordx2 v[20:21], v27, s[0:1]
.LBB4_619:                              ;   in Loop: Header=BB4_564 Depth=1
	v_readfirstlane_b32 s0, v37
	v_mov_b64_e32 v[2:3], 0
	s_nop 0
	v_cmp_eq_u32_e64 s[0:1], s0, v37
	s_and_saveexec_b64 s[18:19], s[0:1]
	s_cbranch_execz .LBB4_625
; %bb.620:                              ;   in Loop: Header=BB4_564 Depth=1
	global_load_dwordx2 v[24:25], v27, s[24:25] offset:24 sc0 sc1
	s_waitcnt vmcnt(0)
	buffer_inv sc0 sc1
	global_load_dwordx2 v[2:3], v27, s[24:25] offset:40
	global_load_dwordx2 v[22:23], v27, s[24:25]
	s_waitcnt vmcnt(1)
	v_and_b32_e32 v2, v2, v24
	v_and_b32_e32 v3, v3, v25
	v_mul_lo_u32 v3, v3, 24
	v_mul_hi_u32 v26, v2, 24
	v_add_u32_e32 v3, v26, v3
	v_mul_lo_u32 v2, v2, 24
	s_waitcnt vmcnt(0)
	v_lshl_add_u64 v[2:3], v[22:23], 0, v[2:3]
	global_load_dwordx2 v[22:23], v[2:3], off sc0 sc1
	s_waitcnt vmcnt(0)
	global_atomic_cmpswap_x2 v[2:3], v27, v[22:25], s[24:25] offset:24 sc0 sc1
	s_waitcnt vmcnt(0)
	buffer_inv sc0 sc1
	v_cmp_ne_u64_e32 vcc, v[2:3], v[24:25]
	s_and_saveexec_b64 s[20:21], vcc
	s_cbranch_execz .LBB4_624
; %bb.621:                              ;   in Loop: Header=BB4_564 Depth=1
	s_mov_b64 s[28:29], 0
.LBB4_622:                              ;   Parent Loop BB4_564 Depth=1
                                        ; =>  This Inner Loop Header: Depth=2
	s_sleep 1
	global_load_dwordx2 v[22:23], v27, s[24:25] offset:40
	global_load_dwordx2 v[28:29], v27, s[24:25]
	v_mov_b64_e32 v[24:25], v[2:3]
	s_waitcnt vmcnt(1)
	v_and_b32_e32 v2, v22, v24
	s_waitcnt vmcnt(0)
	v_mad_u64_u32 v[2:3], s[30:31], v2, 24, v[28:29]
	v_and_b32_e32 v23, v23, v25
	v_mov_b32_e32 v22, v3
	v_mad_u64_u32 v[22:23], s[30:31], v23, 24, v[22:23]
	v_mov_b32_e32 v3, v22
	global_load_dwordx2 v[22:23], v[2:3], off sc0 sc1
	s_waitcnt vmcnt(0)
	global_atomic_cmpswap_x2 v[2:3], v27, v[22:25], s[24:25] offset:24 sc0 sc1
	s_waitcnt vmcnt(0)
	buffer_inv sc0 sc1
	v_cmp_eq_u64_e32 vcc, v[2:3], v[24:25]
	s_or_b64 s[28:29], vcc, s[28:29]
	s_andn2_b64 exec, exec, s[28:29]
	s_cbranch_execnz .LBB4_622
; %bb.623:                              ;   in Loop: Header=BB4_564 Depth=1
	s_or_b64 exec, exec, s[28:29]
.LBB4_624:                              ;   in Loop: Header=BB4_564 Depth=1
	s_or_b64 exec, exec, s[20:21]
.LBB4_625:                              ;   in Loop: Header=BB4_564 Depth=1
	s_or_b64 exec, exec, s[18:19]
	global_load_dwordx2 v[28:29], v27, s[24:25] offset:40
	global_load_dwordx4 v[22:25], v27, s[24:25]
	v_readfirstlane_b32 s18, v2
	v_readfirstlane_b32 s19, v3
	s_mov_b64 s[20:21], exec
	s_waitcnt vmcnt(1)
	v_readfirstlane_b32 s28, v28
	v_readfirstlane_b32 s29, v29
	s_and_b64 s[28:29], s[18:19], s[28:29]
	s_mul_i32 s7, s29, 24
	s_mul_hi_u32 s30, s28, 24
	s_add_i32 s31, s30, s7
	s_mul_i32 s30, s28, 24
	s_waitcnt vmcnt(0)
	v_lshl_add_u64 v[28:29], v[22:23], 0, s[30:31]
	s_and_saveexec_b64 s[30:31], s[0:1]
	s_cbranch_execz .LBB4_627
; %bb.626:                              ;   in Loop: Header=BB4_564 Depth=1
	v_mov_b64_e32 v[2:3], s[20:21]
	global_store_dwordx4 v[28:29], v[2:5], off offset:8
.LBB4_627:                              ;   in Loop: Header=BB4_564 Depth=1
	s_or_b64 exec, exec, s[30:31]
	s_lshl_b64 s[20:21], s[28:29], 12
	v_lshl_add_u64 v[2:3], v[24:25], 0, s[20:21]
	v_or_b32_e32 v24, 2, v6
	v_cmp_gt_u64_e64 vcc, s[14:15], 56
	s_lshl_b32 s7, s16, 2
	s_add_i32 s7, s7, 28
	v_cndmask_b32_e32 v6, v24, v6, vcc
	s_and_b32 s7, s7, 0x1e0
	v_and_b32_e32 v6, 0xffffff1f, v6
	v_or_b32_e32 v6, s7, v6
	v_readfirstlane_b32 s20, v2
	v_readfirstlane_b32 s21, v3
	s_nop 4
	global_store_dwordx4 v38, v[6:9], s[20:21]
	global_store_dwordx4 v38, v[10:13], s[20:21] offset:16
	global_store_dwordx4 v38, v[14:17], s[20:21] offset:32
	;; [unrolled: 1-line block ×3, first 2 shown]
	s_and_saveexec_b64 s[20:21], s[0:1]
	s_cbranch_execz .LBB4_635
; %bb.628:                              ;   in Loop: Header=BB4_564 Depth=1
	global_load_dwordx2 v[14:15], v27, s[24:25] offset:32 sc0 sc1
	global_load_dwordx2 v[6:7], v27, s[24:25] offset:40
	v_mov_b32_e32 v12, s18
	v_mov_b32_e32 v13, s19
	s_waitcnt vmcnt(0)
	v_readfirstlane_b32 s28, v6
	v_readfirstlane_b32 s29, v7
	s_and_b64 s[28:29], s[28:29], s[18:19]
	s_mul_i32 s7, s29, 24
	s_mul_hi_u32 s29, s28, 24
	s_mul_i32 s28, s28, 24
	s_add_i32 s29, s29, s7
	v_lshl_add_u64 v[10:11], v[22:23], 0, s[28:29]
	global_store_dwordx2 v[10:11], v[14:15], off
	buffer_wbl2 sc0 sc1
	s_waitcnt vmcnt(0)
	global_atomic_cmpswap_x2 v[8:9], v27, v[12:15], s[24:25] offset:32 sc0 sc1
	s_waitcnt vmcnt(0)
	v_cmp_ne_u64_e32 vcc, v[8:9], v[14:15]
	s_and_saveexec_b64 s[28:29], vcc
	s_cbranch_execz .LBB4_631
; %bb.629:                              ;   in Loop: Header=BB4_564 Depth=1
	s_mov_b64 s[30:31], 0
.LBB4_630:                              ;   Parent Loop BB4_564 Depth=1
                                        ; =>  This Inner Loop Header: Depth=2
	s_sleep 1
	global_store_dwordx2 v[10:11], v[8:9], off
	v_mov_b32_e32 v6, s18
	v_mov_b32_e32 v7, s19
	buffer_wbl2 sc0 sc1
	s_waitcnt vmcnt(0)
	global_atomic_cmpswap_x2 v[6:7], v27, v[6:9], s[24:25] offset:32 sc0 sc1
	s_waitcnt vmcnt(0)
	v_cmp_eq_u64_e32 vcc, v[6:7], v[8:9]
	s_or_b64 s[30:31], vcc, s[30:31]
	v_mov_b64_e32 v[8:9], v[6:7]
	s_andn2_b64 exec, exec, s[30:31]
	s_cbranch_execnz .LBB4_630
.LBB4_631:                              ;   in Loop: Header=BB4_564 Depth=1
	s_or_b64 exec, exec, s[28:29]
	global_load_dwordx2 v[6:7], v27, s[24:25] offset:16
	s_mov_b64 s[30:31], exec
	v_mbcnt_lo_u32_b32 v8, s30, 0
	v_mbcnt_hi_u32_b32 v8, s31, v8
	v_cmp_eq_u32_e32 vcc, 0, v8
	s_and_saveexec_b64 s[28:29], vcc
	s_cbranch_execz .LBB4_633
; %bb.632:                              ;   in Loop: Header=BB4_564 Depth=1
	s_bcnt1_i32_b64 s7, s[30:31]
	v_mov_b32_e32 v26, s7
	buffer_wbl2 sc0 sc1
	s_waitcnt vmcnt(0)
	global_atomic_add_x2 v[6:7], v[26:27], off offset:8 sc1
.LBB4_633:                              ;   in Loop: Header=BB4_564 Depth=1
	s_or_b64 exec, exec, s[28:29]
	s_waitcnt vmcnt(0)
	global_load_dwordx2 v[8:9], v[6:7], off offset:16
	s_waitcnt vmcnt(0)
	v_cmp_eq_u64_e32 vcc, 0, v[8:9]
	s_cbranch_vccnz .LBB4_635
; %bb.634:                              ;   in Loop: Header=BB4_564 Depth=1
	global_load_dword v26, v[6:7], off offset:24
	s_waitcnt vmcnt(0)
	v_and_b32_e32 v6, 0xffffff, v26
	s_nop 0
	v_readfirstlane_b32 m0, v6
	buffer_wbl2 sc0 sc1
	global_store_dwordx2 v[8:9], v[26:27], off sc0 sc1
	s_sendmsg sendmsg(MSG_INTERRUPT)
.LBB4_635:                              ;   in Loop: Header=BB4_564 Depth=1
	s_or_b64 exec, exec, s[20:21]
	v_mov_b32_e32 v39, v27
	v_lshl_add_u64 v[2:3], v[2:3], 0, v[38:39]
	s_branch .LBB4_639
.LBB4_636:                              ;   in Loop: Header=BB4_639 Depth=2
	s_or_b64 exec, exec, s[20:21]
	v_readfirstlane_b32 s7, v6
	s_cmp_eq_u32 s7, 0
	s_cbranch_scc1 .LBB4_638
; %bb.637:                              ;   in Loop: Header=BB4_639 Depth=2
	s_sleep 1
	s_cbranch_execnz .LBB4_639
	s_branch .LBB4_641
.LBB4_638:                              ;   in Loop: Header=BB4_564 Depth=1
	s_branch .LBB4_641
.LBB4_639:                              ;   Parent Loop BB4_564 Depth=1
                                        ; =>  This Inner Loop Header: Depth=2
	v_mov_b32_e32 v6, 1
	s_and_saveexec_b64 s[20:21], s[0:1]
	s_cbranch_execz .LBB4_636
; %bb.640:                              ;   in Loop: Header=BB4_639 Depth=2
	global_load_dword v6, v[28:29], off offset:20 sc0 sc1
	s_waitcnt vmcnt(0)
	buffer_inv sc0 sc1
	v_and_b32_e32 v6, 1, v6
	s_branch .LBB4_636
.LBB4_641:                              ;   in Loop: Header=BB4_564 Depth=1
	global_load_dwordx4 v[6:9], v[2:3], off
	s_and_saveexec_b64 s[20:21], s[0:1]
	s_cbranch_execz .LBB4_563
; %bb.642:                              ;   in Loop: Header=BB4_564 Depth=1
	global_load_dwordx2 v[2:3], v27, s[24:25] offset:40
	global_load_dwordx2 v[12:13], v27, s[24:25] offset:24 sc0 sc1
	global_load_dwordx2 v[14:15], v27, s[24:25]
	s_waitcnt vmcnt(2)
	v_lshl_add_u64 v[8:9], v[2:3], 0, 1
	v_lshl_add_u64 v[16:17], v[8:9], 0, s[18:19]
	v_cmp_eq_u64_e32 vcc, 0, v[16:17]
	s_waitcnt vmcnt(1)
	v_mov_b32_e32 v10, v12
	v_cndmask_b32_e32 v9, v17, v9, vcc
	v_cndmask_b32_e32 v8, v16, v8, vcc
	v_and_b32_e32 v3, v9, v3
	v_and_b32_e32 v2, v8, v2
	v_mul_lo_u32 v3, v3, 24
	v_mul_hi_u32 v11, v2, 24
	v_mul_lo_u32 v2, v2, 24
	v_add_u32_e32 v3, v11, v3
	s_waitcnt vmcnt(0)
	v_lshl_add_u64 v[2:3], v[14:15], 0, v[2:3]
	global_store_dwordx2 v[2:3], v[12:13], off
	v_mov_b32_e32 v11, v13
	buffer_wbl2 sc0 sc1
	s_waitcnt vmcnt(0)
	global_atomic_cmpswap_x2 v[10:11], v27, v[8:11], s[24:25] offset:24 sc0 sc1
	s_waitcnt vmcnt(0)
	v_cmp_ne_u64_e32 vcc, v[10:11], v[12:13]
	s_and_b64 exec, exec, vcc
	s_cbranch_execz .LBB4_563
; %bb.643:                              ;   in Loop: Header=BB4_564 Depth=1
	s_mov_b64 s[0:1], 0
.LBB4_644:                              ;   Parent Loop BB4_564 Depth=1
                                        ; =>  This Inner Loop Header: Depth=2
	s_sleep 1
	global_store_dwordx2 v[2:3], v[10:11], off
	buffer_wbl2 sc0 sc1
	s_waitcnt vmcnt(0)
	global_atomic_cmpswap_x2 v[12:13], v27, v[8:11], s[24:25] offset:24 sc0 sc1
	s_waitcnt vmcnt(0)
	v_cmp_eq_u64_e32 vcc, v[12:13], v[10:11]
	s_or_b64 s[0:1], vcc, s[0:1]
	v_mov_b64_e32 v[10:11], v[12:13]
	s_andn2_b64 exec, exec, s[0:1]
	s_cbranch_execnz .LBB4_644
	s_branch .LBB4_563
.LBB4_645:
	s_branch .LBB4_673
.LBB4_646:
	s_cbranch_execz .LBB4_673
; %bb.647:
	v_readfirstlane_b32 s0, v37
	s_waitcnt vmcnt(0)
	v_mov_b64_e32 v[8:9], 0
	v_cmp_eq_u32_e64 s[0:1], s0, v37
	s_and_saveexec_b64 s[12:13], s[0:1]
	s_cbranch_execz .LBB4_653
; %bb.648:
	v_mov_b32_e32 v2, 0
	global_load_dwordx2 v[6:7], v2, s[24:25] offset:24 sc0 sc1
	s_waitcnt vmcnt(0)
	buffer_inv sc0 sc1
	global_load_dwordx2 v[4:5], v2, s[24:25] offset:40
	global_load_dwordx2 v[8:9], v2, s[24:25]
	s_waitcnt vmcnt(1)
	v_and_b32_e32 v3, v4, v6
	v_and_b32_e32 v4, v5, v7
	v_mul_lo_u32 v4, v4, 24
	v_mul_hi_u32 v5, v3, 24
	v_add_u32_e32 v5, v5, v4
	v_mul_lo_u32 v4, v3, 24
	s_waitcnt vmcnt(0)
	v_lshl_add_u64 v[4:5], v[8:9], 0, v[4:5]
	global_load_dwordx2 v[4:5], v[4:5], off sc0 sc1
	s_waitcnt vmcnt(0)
	global_atomic_cmpswap_x2 v[8:9], v2, v[4:7], s[24:25] offset:24 sc0 sc1
	s_waitcnt vmcnt(0)
	buffer_inv sc0 sc1
	v_cmp_ne_u64_e32 vcc, v[8:9], v[6:7]
	s_and_saveexec_b64 s[14:15], vcc
	s_cbranch_execz .LBB4_652
; %bb.649:
	s_mov_b64 s[16:17], 0
.LBB4_650:                              ; =>This Inner Loop Header: Depth=1
	s_sleep 1
	global_load_dwordx2 v[4:5], v2, s[24:25] offset:40
	global_load_dwordx2 v[10:11], v2, s[24:25]
	v_mov_b64_e32 v[6:7], v[8:9]
	s_waitcnt vmcnt(1)
	v_and_b32_e32 v4, v4, v6
	v_and_b32_e32 v3, v5, v7
	s_waitcnt vmcnt(0)
	v_mad_u64_u32 v[4:5], s[18:19], v4, 24, v[10:11]
	v_mov_b32_e32 v8, v5
	v_mad_u64_u32 v[8:9], s[18:19], v3, 24, v[8:9]
	v_mov_b32_e32 v5, v8
	global_load_dwordx2 v[4:5], v[4:5], off sc0 sc1
	s_waitcnt vmcnt(0)
	global_atomic_cmpswap_x2 v[8:9], v2, v[4:7], s[24:25] offset:24 sc0 sc1
	s_waitcnt vmcnt(0)
	buffer_inv sc0 sc1
	v_cmp_eq_u64_e32 vcc, v[8:9], v[6:7]
	s_or_b64 s[16:17], vcc, s[16:17]
	s_andn2_b64 exec, exec, s[16:17]
	s_cbranch_execnz .LBB4_650
; %bb.651:
	s_or_b64 exec, exec, s[16:17]
.LBB4_652:
	s_or_b64 exec, exec, s[14:15]
.LBB4_653:
	s_or_b64 exec, exec, s[12:13]
	v_mov_b32_e32 v2, 0
	global_load_dwordx2 v[10:11], v2, s[24:25] offset:40
	global_load_dwordx4 v[4:7], v2, s[24:25]
	v_readfirstlane_b32 s12, v8
	v_readfirstlane_b32 s13, v9
	s_mov_b64 s[14:15], exec
	s_waitcnt vmcnt(1)
	v_readfirstlane_b32 s16, v10
	v_readfirstlane_b32 s17, v11
	s_and_b64 s[16:17], s[12:13], s[16:17]
	s_mul_i32 s7, s17, 24
	s_mul_hi_u32 s18, s16, 24
	s_add_i32 s19, s18, s7
	s_mul_i32 s18, s16, 24
	s_waitcnt vmcnt(0)
	v_lshl_add_u64 v[8:9], v[4:5], 0, s[18:19]
	s_and_saveexec_b64 s[18:19], s[0:1]
	s_cbranch_execz .LBB4_655
; %bb.654:
	v_mov_b64_e32 v[10:11], s[14:15]
	v_mov_b32_e32 v12, 2
	v_mov_b32_e32 v13, 1
	global_store_dwordx4 v[8:9], v[10:13], off offset:8
.LBB4_655:
	s_or_b64 exec, exec, s[18:19]
	s_lshl_b64 s[14:15], s[16:17], 12
	v_lshl_add_u64 v[6:7], v[6:7], 0, s[14:15]
	s_movk_i32 s7, 0xff1d
	s_mov_b32 s16, 0
	v_and_or_b32 v0, v0, s7, 34
	v_mov_b32_e32 v3, v2
	v_readfirstlane_b32 s14, v6
	v_readfirstlane_b32 s15, v7
	s_mov_b32 s17, s16
	s_mov_b32 s18, s16
	;; [unrolled: 1-line block ×3, first 2 shown]
	s_nop 1
	global_store_dwordx4 v38, v[0:3], s[14:15]
	s_nop 1
	v_mov_b64_e32 v[0:1], s[16:17]
	v_mov_b64_e32 v[2:3], s[18:19]
	global_store_dwordx4 v38, v[0:3], s[14:15] offset:16
	global_store_dwordx4 v38, v[0:3], s[14:15] offset:32
	;; [unrolled: 1-line block ×3, first 2 shown]
	s_and_saveexec_b64 s[14:15], s[0:1]
	s_cbranch_execz .LBB4_663
; %bb.656:
	v_mov_b32_e32 v6, 0
	global_load_dwordx2 v[12:13], v6, s[24:25] offset:32 sc0 sc1
	global_load_dwordx2 v[0:1], v6, s[24:25] offset:40
	v_mov_b32_e32 v10, s12
	v_mov_b32_e32 v11, s13
	s_waitcnt vmcnt(0)
	v_readfirstlane_b32 s16, v0
	v_readfirstlane_b32 s17, v1
	s_and_b64 s[16:17], s[16:17], s[12:13]
	s_mul_i32 s7, s17, 24
	s_mul_hi_u32 s17, s16, 24
	s_mul_i32 s16, s16, 24
	s_add_i32 s17, s17, s7
	v_lshl_add_u64 v[4:5], v[4:5], 0, s[16:17]
	global_store_dwordx2 v[4:5], v[12:13], off
	buffer_wbl2 sc0 sc1
	s_waitcnt vmcnt(0)
	global_atomic_cmpswap_x2 v[2:3], v6, v[10:13], s[24:25] offset:32 sc0 sc1
	s_waitcnt vmcnt(0)
	v_cmp_ne_u64_e32 vcc, v[2:3], v[12:13]
	s_and_saveexec_b64 s[16:17], vcc
	s_cbranch_execz .LBB4_659
; %bb.657:
	s_mov_b64 s[18:19], 0
.LBB4_658:                              ; =>This Inner Loop Header: Depth=1
	s_sleep 1
	global_store_dwordx2 v[4:5], v[2:3], off
	v_mov_b32_e32 v0, s12
	v_mov_b32_e32 v1, s13
	buffer_wbl2 sc0 sc1
	s_waitcnt vmcnt(0)
	global_atomic_cmpswap_x2 v[0:1], v6, v[0:3], s[24:25] offset:32 sc0 sc1
	s_waitcnt vmcnt(0)
	v_cmp_eq_u64_e32 vcc, v[0:1], v[2:3]
	s_or_b64 s[18:19], vcc, s[18:19]
	v_mov_b64_e32 v[2:3], v[0:1]
	s_andn2_b64 exec, exec, s[18:19]
	s_cbranch_execnz .LBB4_658
.LBB4_659:
	s_or_b64 exec, exec, s[16:17]
	v_mov_b32_e32 v3, 0
	global_load_dwordx2 v[0:1], v3, s[24:25] offset:16
	s_mov_b64 s[16:17], exec
	v_mbcnt_lo_u32_b32 v2, s16, 0
	v_mbcnt_hi_u32_b32 v2, s17, v2
	v_cmp_eq_u32_e32 vcc, 0, v2
	s_and_saveexec_b64 s[18:19], vcc
	s_cbranch_execz .LBB4_661
; %bb.660:
	s_bcnt1_i32_b64 s7, s[16:17]
	v_mov_b32_e32 v2, s7
	buffer_wbl2 sc0 sc1
	s_waitcnt vmcnt(0)
	global_atomic_add_x2 v[0:1], v[2:3], off offset:8 sc1
.LBB4_661:
	s_or_b64 exec, exec, s[18:19]
	s_waitcnt vmcnt(0)
	global_load_dwordx2 v[2:3], v[0:1], off offset:16
	s_waitcnt vmcnt(0)
	v_cmp_eq_u64_e32 vcc, 0, v[2:3]
	s_cbranch_vccnz .LBB4_663
; %bb.662:
	global_load_dword v0, v[0:1], off offset:24
	v_mov_b32_e32 v1, 0
	buffer_wbl2 sc0 sc1
	s_waitcnt vmcnt(0)
	global_store_dwordx2 v[2:3], v[0:1], off sc0 sc1
	v_and_b32_e32 v0, 0xffffff, v0
	s_nop 0
	v_readfirstlane_b32 m0, v0
	s_sendmsg sendmsg(MSG_INTERRUPT)
.LBB4_663:
	s_or_b64 exec, exec, s[14:15]
	s_branch .LBB4_667
.LBB4_664:                              ;   in Loop: Header=BB4_667 Depth=1
	s_or_b64 exec, exec, s[14:15]
	v_readfirstlane_b32 s7, v0
	s_cmp_eq_u32 s7, 0
	s_cbranch_scc1 .LBB4_666
; %bb.665:                              ;   in Loop: Header=BB4_667 Depth=1
	s_sleep 1
	s_cbranch_execnz .LBB4_667
	s_branch .LBB4_669
.LBB4_666:
	s_branch .LBB4_669
.LBB4_667:                              ; =>This Inner Loop Header: Depth=1
	v_mov_b32_e32 v0, 1
	s_and_saveexec_b64 s[14:15], s[0:1]
	s_cbranch_execz .LBB4_664
; %bb.668:                              ;   in Loop: Header=BB4_667 Depth=1
	global_load_dword v0, v[8:9], off offset:20 sc0 sc1
	s_waitcnt vmcnt(0)
	buffer_inv sc0 sc1
	v_and_b32_e32 v0, 1, v0
	s_branch .LBB4_664
.LBB4_669:
	s_and_saveexec_b64 s[14:15], s[0:1]
	s_cbranch_execz .LBB4_672
; %bb.670:
	v_mov_b32_e32 v6, 0
	global_load_dwordx2 v[4:5], v6, s[24:25] offset:40
	global_load_dwordx2 v[8:9], v6, s[24:25] offset:24 sc0 sc1
	global_load_dwordx2 v[10:11], v6, s[24:25]
	s_mov_b64 s[0:1], 0
	s_waitcnt vmcnt(2)
	v_lshl_add_u64 v[0:1], v[4:5], 0, 1
	v_lshl_add_u64 v[12:13], v[0:1], 0, s[12:13]
	v_cmp_eq_u64_e32 vcc, 0, v[12:13]
	s_waitcnt vmcnt(1)
	v_mov_b32_e32 v2, v8
	v_cndmask_b32_e32 v1, v13, v1, vcc
	v_cndmask_b32_e32 v0, v12, v0, vcc
	v_and_b32_e32 v3, v1, v5
	v_and_b32_e32 v4, v0, v4
	v_mul_lo_u32 v3, v3, 24
	v_mul_hi_u32 v5, v4, 24
	v_mul_lo_u32 v4, v4, 24
	v_add_u32_e32 v5, v5, v3
	s_waitcnt vmcnt(0)
	v_lshl_add_u64 v[4:5], v[10:11], 0, v[4:5]
	global_store_dwordx2 v[4:5], v[8:9], off
	v_mov_b32_e32 v3, v9
	buffer_wbl2 sc0 sc1
	s_waitcnt vmcnt(0)
	global_atomic_cmpswap_x2 v[2:3], v6, v[0:3], s[24:25] offset:24 sc0 sc1
	s_waitcnt vmcnt(0)
	v_cmp_ne_u64_e32 vcc, v[2:3], v[8:9]
	s_and_b64 exec, exec, vcc
	s_cbranch_execz .LBB4_672
.LBB4_671:                              ; =>This Inner Loop Header: Depth=1
	s_sleep 1
	global_store_dwordx2 v[4:5], v[2:3], off
	buffer_wbl2 sc0 sc1
	s_waitcnt vmcnt(0)
	global_atomic_cmpswap_x2 v[8:9], v6, v[0:3], s[24:25] offset:24 sc0 sc1
	s_waitcnt vmcnt(0)
	v_cmp_eq_u64_e32 vcc, v[8:9], v[2:3]
	s_or_b64 s[0:1], vcc, s[0:1]
	v_mov_b64_e32 v[2:3], v[8:9]
	s_andn2_b64 exec, exec, s[0:1]
	s_cbranch_execnz .LBB4_671
.LBB4_672:
	s_or_b64 exec, exec, s[14:15]
.LBB4_673:
	v_readfirstlane_b32 s0, v37
	s_waitcnt vmcnt(0)
	v_mov_b64_e32 v[4:5], 0
	v_cmp_eq_u32_e64 s[0:1], s0, v37
	s_and_saveexec_b64 s[12:13], s[0:1]
	s_cbranch_execz .LBB4_679
; %bb.674:
	v_mov_b32_e32 v0, 0
	global_load_dwordx2 v[6:7], v0, s[24:25] offset:24 sc0 sc1
	s_waitcnt vmcnt(0)
	buffer_inv sc0 sc1
	global_load_dwordx2 v[2:3], v0, s[24:25] offset:40
	global_load_dwordx2 v[4:5], v0, s[24:25]
	s_waitcnt vmcnt(1)
	v_and_b32_e32 v1, v2, v6
	v_and_b32_e32 v2, v3, v7
	v_mul_lo_u32 v2, v2, 24
	v_mul_hi_u32 v3, v1, 24
	v_add_u32_e32 v3, v3, v2
	v_mul_lo_u32 v2, v1, 24
	s_waitcnt vmcnt(0)
	v_lshl_add_u64 v[2:3], v[4:5], 0, v[2:3]
	global_load_dwordx2 v[4:5], v[2:3], off sc0 sc1
	s_waitcnt vmcnt(0)
	global_atomic_cmpswap_x2 v[4:5], v0, v[4:7], s[24:25] offset:24 sc0 sc1
	s_waitcnt vmcnt(0)
	buffer_inv sc0 sc1
	v_cmp_ne_u64_e32 vcc, v[4:5], v[6:7]
	s_and_saveexec_b64 s[14:15], vcc
	s_cbranch_execz .LBB4_678
; %bb.675:
	s_mov_b64 s[16:17], 0
.LBB4_676:                              ; =>This Inner Loop Header: Depth=1
	s_sleep 1
	global_load_dwordx2 v[2:3], v0, s[24:25] offset:40
	global_load_dwordx2 v[8:9], v0, s[24:25]
	v_mov_b64_e32 v[6:7], v[4:5]
	s_waitcnt vmcnt(1)
	v_and_b32_e32 v2, v2, v6
	v_and_b32_e32 v1, v3, v7
	s_waitcnt vmcnt(0)
	v_mad_u64_u32 v[2:3], s[18:19], v2, 24, v[8:9]
	v_mov_b32_e32 v4, v3
	v_mad_u64_u32 v[4:5], s[18:19], v1, 24, v[4:5]
	v_mov_b32_e32 v3, v4
	global_load_dwordx2 v[4:5], v[2:3], off sc0 sc1
	s_waitcnt vmcnt(0)
	global_atomic_cmpswap_x2 v[4:5], v0, v[4:7], s[24:25] offset:24 sc0 sc1
	s_waitcnt vmcnt(0)
	buffer_inv sc0 sc1
	v_cmp_eq_u64_e32 vcc, v[4:5], v[6:7]
	s_or_b64 s[16:17], vcc, s[16:17]
	s_andn2_b64 exec, exec, s[16:17]
	s_cbranch_execnz .LBB4_676
; %bb.677:
	s_or_b64 exec, exec, s[16:17]
.LBB4_678:
	s_or_b64 exec, exec, s[14:15]
.LBB4_679:
	s_or_b64 exec, exec, s[12:13]
	v_mov_b32_e32 v39, 0
	global_load_dwordx2 v[6:7], v39, s[24:25] offset:40
	global_load_dwordx4 v[0:3], v39, s[24:25]
	v_readfirstlane_b32 s12, v4
	v_readfirstlane_b32 s13, v5
	s_mov_b64 s[14:15], exec
	s_waitcnt vmcnt(1)
	v_readfirstlane_b32 s16, v6
	v_readfirstlane_b32 s17, v7
	s_and_b64 s[16:17], s[12:13], s[16:17]
	s_mul_i32 s7, s17, 24
	s_mul_hi_u32 s18, s16, 24
	s_add_i32 s19, s18, s7
	s_mul_i32 s18, s16, 24
	s_waitcnt vmcnt(0)
	v_lshl_add_u64 v[4:5], v[0:1], 0, s[18:19]
	s_and_saveexec_b64 s[18:19], s[0:1]
	s_cbranch_execz .LBB4_681
; %bb.680:
	v_mov_b64_e32 v[6:7], s[14:15]
	v_mov_b32_e32 v8, 2
	v_mov_b32_e32 v9, 1
	global_store_dwordx4 v[4:5], v[6:9], off offset:8
.LBB4_681:
	s_or_b64 exec, exec, s[18:19]
	s_lshl_b64 s[14:15], s[16:17], 12
	v_lshl_add_u64 v[6:7], v[2:3], 0, s[14:15]
	s_mov_b32 s16, 0
	v_mov_b32_e32 v8, 33
	v_mov_b32_e32 v9, v39
	;; [unrolled: 1-line block ×4, first 2 shown]
	v_readfirstlane_b32 s14, v6
	v_readfirstlane_b32 s15, v7
	s_mov_b32 s17, s16
	s_mov_b32 s18, s16
	;; [unrolled: 1-line block ×3, first 2 shown]
	s_nop 1
	global_store_dwordx4 v38, v[8:11], s[14:15]
	s_nop 1
	v_mov_b64_e32 v[8:9], s[16:17]
	v_mov_b64_e32 v[10:11], s[18:19]
	global_store_dwordx4 v38, v[8:11], s[14:15] offset:16
	global_store_dwordx4 v38, v[8:11], s[14:15] offset:32
	;; [unrolled: 1-line block ×3, first 2 shown]
	s_and_saveexec_b64 s[14:15], s[0:1]
	s_cbranch_execz .LBB4_689
; %bb.682:
	v_mov_b32_e32 v10, 0
	global_load_dwordx2 v[14:15], v10, s[24:25] offset:32 sc0 sc1
	global_load_dwordx2 v[2:3], v10, s[24:25] offset:40
	v_mov_b32_e32 v12, s12
	v_mov_b32_e32 v13, s13
	s_waitcnt vmcnt(0)
	v_readfirstlane_b32 s16, v2
	v_readfirstlane_b32 s17, v3
	s_and_b64 s[16:17], s[16:17], s[12:13]
	s_mul_i32 s7, s17, 24
	s_mul_hi_u32 s17, s16, 24
	s_mul_i32 s16, s16, 24
	s_add_i32 s17, s17, s7
	v_lshl_add_u64 v[8:9], v[0:1], 0, s[16:17]
	global_store_dwordx2 v[8:9], v[14:15], off
	buffer_wbl2 sc0 sc1
	s_waitcnt vmcnt(0)
	global_atomic_cmpswap_x2 v[2:3], v10, v[12:15], s[24:25] offset:32 sc0 sc1
	s_waitcnt vmcnt(0)
	v_cmp_ne_u64_e32 vcc, v[2:3], v[14:15]
	s_and_saveexec_b64 s[16:17], vcc
	s_cbranch_execz .LBB4_685
; %bb.683:
	s_mov_b64 s[18:19], 0
.LBB4_684:                              ; =>This Inner Loop Header: Depth=1
	s_sleep 1
	global_store_dwordx2 v[8:9], v[2:3], off
	v_mov_b32_e32 v0, s12
	v_mov_b32_e32 v1, s13
	buffer_wbl2 sc0 sc1
	s_waitcnt vmcnt(0)
	global_atomic_cmpswap_x2 v[0:1], v10, v[0:3], s[24:25] offset:32 sc0 sc1
	s_waitcnt vmcnt(0)
	v_cmp_eq_u64_e32 vcc, v[0:1], v[2:3]
	s_or_b64 s[18:19], vcc, s[18:19]
	v_mov_b64_e32 v[2:3], v[0:1]
	s_andn2_b64 exec, exec, s[18:19]
	s_cbranch_execnz .LBB4_684
.LBB4_685:
	s_or_b64 exec, exec, s[16:17]
	v_mov_b32_e32 v3, 0
	global_load_dwordx2 v[0:1], v3, s[24:25] offset:16
	s_mov_b64 s[16:17], exec
	v_mbcnt_lo_u32_b32 v2, s16, 0
	v_mbcnt_hi_u32_b32 v2, s17, v2
	v_cmp_eq_u32_e32 vcc, 0, v2
	s_and_saveexec_b64 s[18:19], vcc
	s_cbranch_execz .LBB4_687
; %bb.686:
	s_bcnt1_i32_b64 s7, s[16:17]
	v_mov_b32_e32 v2, s7
	buffer_wbl2 sc0 sc1
	s_waitcnt vmcnt(0)
	global_atomic_add_x2 v[0:1], v[2:3], off offset:8 sc1
.LBB4_687:
	s_or_b64 exec, exec, s[18:19]
	s_waitcnt vmcnt(0)
	global_load_dwordx2 v[2:3], v[0:1], off offset:16
	s_waitcnt vmcnt(0)
	v_cmp_eq_u64_e32 vcc, 0, v[2:3]
	s_cbranch_vccnz .LBB4_689
; %bb.688:
	global_load_dword v0, v[0:1], off offset:24
	v_mov_b32_e32 v1, 0
	buffer_wbl2 sc0 sc1
	s_waitcnt vmcnt(0)
	global_store_dwordx2 v[2:3], v[0:1], off sc0 sc1
	v_and_b32_e32 v0, 0xffffff, v0
	s_nop 0
	v_readfirstlane_b32 m0, v0
	s_sendmsg sendmsg(MSG_INTERRUPT)
.LBB4_689:
	s_or_b64 exec, exec, s[14:15]
	v_lshl_add_u64 v[0:1], v[6:7], 0, v[38:39]
	s_branch .LBB4_693
.LBB4_690:                              ;   in Loop: Header=BB4_693 Depth=1
	s_or_b64 exec, exec, s[14:15]
	v_readfirstlane_b32 s7, v2
	s_cmp_eq_u32 s7, 0
	s_cbranch_scc1 .LBB4_692
; %bb.691:                              ;   in Loop: Header=BB4_693 Depth=1
	s_sleep 1
	s_cbranch_execnz .LBB4_693
	s_branch .LBB4_695
.LBB4_692:
	s_branch .LBB4_695
.LBB4_693:                              ; =>This Inner Loop Header: Depth=1
	v_mov_b32_e32 v2, 1
	s_and_saveexec_b64 s[14:15], s[0:1]
	s_cbranch_execz .LBB4_690
; %bb.694:                              ;   in Loop: Header=BB4_693 Depth=1
	global_load_dword v2, v[4:5], off offset:20 sc0 sc1
	s_waitcnt vmcnt(0)
	buffer_inv sc0 sc1
	v_and_b32_e32 v2, 1, v2
	s_branch .LBB4_690
.LBB4_695:
	global_load_dwordx2 v[0:1], v[0:1], off
	s_and_saveexec_b64 s[14:15], s[0:1]
	s_cbranch_execz .LBB4_698
; %bb.696:
	v_mov_b32_e32 v8, 0
	global_load_dwordx2 v[6:7], v8, s[24:25] offset:40
	global_load_dwordx2 v[10:11], v8, s[24:25] offset:24 sc0 sc1
	global_load_dwordx2 v[12:13], v8, s[24:25]
	s_mov_b64 s[0:1], 0
	s_waitcnt vmcnt(2)
	v_lshl_add_u64 v[2:3], v[6:7], 0, 1
	v_lshl_add_u64 v[14:15], v[2:3], 0, s[12:13]
	v_cmp_eq_u64_e32 vcc, 0, v[14:15]
	s_waitcnt vmcnt(1)
	v_mov_b32_e32 v4, v10
	v_cndmask_b32_e32 v3, v15, v3, vcc
	v_cndmask_b32_e32 v2, v14, v2, vcc
	v_and_b32_e32 v5, v3, v7
	v_and_b32_e32 v6, v2, v6
	v_mul_lo_u32 v5, v5, 24
	v_mul_hi_u32 v7, v6, 24
	v_mul_lo_u32 v6, v6, 24
	v_add_u32_e32 v7, v7, v5
	s_waitcnt vmcnt(0)
	v_lshl_add_u64 v[6:7], v[12:13], 0, v[6:7]
	global_store_dwordx2 v[6:7], v[10:11], off
	v_mov_b32_e32 v5, v11
	buffer_wbl2 sc0 sc1
	s_waitcnt vmcnt(0)
	global_atomic_cmpswap_x2 v[4:5], v8, v[2:5], s[24:25] offset:24 sc0 sc1
	s_waitcnt vmcnt(0)
	v_cmp_ne_u64_e32 vcc, v[4:5], v[10:11]
	s_and_b64 exec, exec, vcc
	s_cbranch_execz .LBB4_698
.LBB4_697:                              ; =>This Inner Loop Header: Depth=1
	s_sleep 1
	global_store_dwordx2 v[6:7], v[4:5], off
	buffer_wbl2 sc0 sc1
	s_waitcnt vmcnt(0)
	global_atomic_cmpswap_x2 v[10:11], v8, v[2:5], s[24:25] offset:24 sc0 sc1
	s_waitcnt vmcnt(0)
	v_cmp_eq_u64_e32 vcc, v[10:11], v[4:5]
	s_or_b64 s[0:1], vcc, s[0:1]
	v_mov_b64_e32 v[4:5], v[10:11]
	s_andn2_b64 exec, exec, s[0:1]
	s_cbranch_execnz .LBB4_697
.LBB4_698:
	s_or_b64 exec, exec, s[14:15]
	s_and_b64 vcc, exec, s[26:27]
	s_cbranch_vccz .LBB4_783
; %bb.699:
	s_waitcnt vmcnt(0)
	v_and_b32_e32 v28, 2, v0
	v_mov_b32_e32 v31, 0
	v_and_b32_e32 v2, -3, v0
	v_mov_b32_e32 v3, v1
	s_mov_b64 s[14:15], 3
	v_mov_b32_e32 v6, 2
	v_mov_b32_e32 v7, 1
	s_getpc_b64 s[12:13]
	s_add_u32 s12, s12, .str.6@rel32@lo+4
	s_addc_u32 s13, s13, .str.6@rel32@hi+12
	s_branch .LBB4_701
.LBB4_700:                              ;   in Loop: Header=BB4_701 Depth=1
	s_or_b64 exec, exec, s[20:21]
	s_sub_u32 s14, s14, s16
	s_subb_u32 s15, s15, s17
	s_add_u32 s12, s12, s16
	s_addc_u32 s13, s13, s17
	s_cmp_lg_u64 s[14:15], 0
	s_cbranch_scc0 .LBB4_782
.LBB4_701:                              ; =>This Loop Header: Depth=1
                                        ;     Child Loop BB4_704 Depth 2
                                        ;     Child Loop BB4_711 Depth 2
	;; [unrolled: 1-line block ×11, first 2 shown]
	v_cmp_lt_u64_e64 s[0:1], s[14:15], 56
	s_and_b64 s[0:1], s[0:1], exec
	v_cmp_gt_u64_e64 s[0:1], s[14:15], 7
	s_cselect_b32 s17, s15, 0
	s_cselect_b32 s16, s14, 56
	s_and_b64 vcc, exec, s[0:1]
	s_cbranch_vccnz .LBB4_706
; %bb.702:                              ;   in Loop: Header=BB4_701 Depth=1
	s_mov_b64 s[0:1], 0
	s_cmp_eq_u64 s[14:15], 0
	v_mov_b64_e32 v[10:11], 0
	s_cbranch_scc1 .LBB4_705
; %bb.703:                              ;   in Loop: Header=BB4_701 Depth=1
	s_lshl_b64 s[18:19], s[16:17], 3
	s_mov_b64 s[20:21], 0
	v_mov_b64_e32 v[10:11], 0
	s_mov_b64 s[28:29], s[12:13]
.LBB4_704:                              ;   Parent Loop BB4_701 Depth=1
                                        ; =>  This Inner Loop Header: Depth=2
	global_load_ubyte v4, v31, s[28:29]
	s_waitcnt vmcnt(0)
	v_and_b32_e32 v30, 0xffff, v4
	v_lshlrev_b64 v[4:5], s20, v[30:31]
	s_add_u32 s20, s20, 8
	s_addc_u32 s21, s21, 0
	s_add_u32 s28, s28, 1
	s_addc_u32 s29, s29, 0
	v_or_b32_e32 v10, v4, v10
	s_cmp_lg_u32 s18, s20
	v_or_b32_e32 v11, v5, v11
	s_cbranch_scc1 .LBB4_704
.LBB4_705:                              ;   in Loop: Header=BB4_701 Depth=1
	s_mov_b32 s7, 0
	s_andn2_b64 vcc, exec, s[0:1]
	s_mov_b64 s[0:1], s[12:13]
	s_cbranch_vccz .LBB4_707
	s_branch .LBB4_708
.LBB4_706:                              ;   in Loop: Header=BB4_701 Depth=1
                                        ; implicit-def: $vgpr10_vgpr11
                                        ; implicit-def: $sgpr7
	s_mov_b64 s[0:1], s[12:13]
.LBB4_707:                              ;   in Loop: Header=BB4_701 Depth=1
	global_load_dwordx2 v[10:11], v31, s[12:13]
	s_add_i32 s7, s16, -8
	s_add_u32 s0, s12, 8
	s_addc_u32 s1, s13, 0
.LBB4_708:                              ;   in Loop: Header=BB4_701 Depth=1
	s_cmp_gt_u32 s7, 7
	s_cbranch_scc1 .LBB4_712
; %bb.709:                              ;   in Loop: Header=BB4_701 Depth=1
	s_cmp_eq_u32 s7, 0
	s_cbranch_scc1 .LBB4_713
; %bb.710:                              ;   in Loop: Header=BB4_701 Depth=1
	s_mov_b64 s[18:19], 0
	v_mov_b64_e32 v[12:13], 0
	s_mov_b64 s[20:21], 0
.LBB4_711:                              ;   Parent Loop BB4_701 Depth=1
                                        ; =>  This Inner Loop Header: Depth=2
	s_add_u32 s28, s0, s20
	s_addc_u32 s29, s1, s21
	global_load_ubyte v4, v31, s[28:29]
	s_add_u32 s20, s20, 1
	s_addc_u32 s21, s21, 0
	s_waitcnt vmcnt(0)
	v_and_b32_e32 v30, 0xffff, v4
	v_lshlrev_b64 v[4:5], s18, v[30:31]
	s_add_u32 s18, s18, 8
	s_addc_u32 s19, s19, 0
	v_or_b32_e32 v12, v4, v12
	s_cmp_lg_u32 s7, s20
	v_or_b32_e32 v13, v5, v13
	s_cbranch_scc1 .LBB4_711
	s_branch .LBB4_714
.LBB4_712:                              ;   in Loop: Header=BB4_701 Depth=1
                                        ; implicit-def: $vgpr12_vgpr13
                                        ; implicit-def: $sgpr28
	s_branch .LBB4_715
.LBB4_713:                              ;   in Loop: Header=BB4_701 Depth=1
	v_mov_b64_e32 v[12:13], 0
.LBB4_714:                              ;   in Loop: Header=BB4_701 Depth=1
	s_mov_b32 s28, 0
	s_cbranch_execnz .LBB4_716
.LBB4_715:                              ;   in Loop: Header=BB4_701 Depth=1
	global_load_dwordx2 v[12:13], v31, s[0:1]
	s_add_i32 s28, s7, -8
	s_add_u32 s0, s0, 8
	s_addc_u32 s1, s1, 0
.LBB4_716:                              ;   in Loop: Header=BB4_701 Depth=1
	s_cmp_gt_u32 s28, 7
	s_cbranch_scc1 .LBB4_720
; %bb.717:                              ;   in Loop: Header=BB4_701 Depth=1
	s_cmp_eq_u32 s28, 0
	s_cbranch_scc1 .LBB4_721
; %bb.718:                              ;   in Loop: Header=BB4_701 Depth=1
	s_mov_b64 s[18:19], 0
	v_mov_b64_e32 v[14:15], 0
	s_mov_b64 s[20:21], 0
.LBB4_719:                              ;   Parent Loop BB4_701 Depth=1
                                        ; =>  This Inner Loop Header: Depth=2
	s_add_u32 s30, s0, s20
	s_addc_u32 s31, s1, s21
	global_load_ubyte v4, v31, s[30:31]
	s_add_u32 s20, s20, 1
	s_addc_u32 s21, s21, 0
	s_waitcnt vmcnt(0)
	v_and_b32_e32 v30, 0xffff, v4
	v_lshlrev_b64 v[4:5], s18, v[30:31]
	s_add_u32 s18, s18, 8
	s_addc_u32 s19, s19, 0
	v_or_b32_e32 v14, v4, v14
	s_cmp_lg_u32 s28, s20
	v_or_b32_e32 v15, v5, v15
	s_cbranch_scc1 .LBB4_719
	s_branch .LBB4_722
.LBB4_720:                              ;   in Loop: Header=BB4_701 Depth=1
                                        ; implicit-def: $sgpr7
	s_branch .LBB4_723
.LBB4_721:                              ;   in Loop: Header=BB4_701 Depth=1
	v_mov_b64_e32 v[14:15], 0
.LBB4_722:                              ;   in Loop: Header=BB4_701 Depth=1
	s_mov_b32 s7, 0
	s_cbranch_execnz .LBB4_724
.LBB4_723:                              ;   in Loop: Header=BB4_701 Depth=1
	global_load_dwordx2 v[14:15], v31, s[0:1]
	s_add_i32 s7, s28, -8
	s_add_u32 s0, s0, 8
	s_addc_u32 s1, s1, 0
.LBB4_724:                              ;   in Loop: Header=BB4_701 Depth=1
	s_cmp_gt_u32 s7, 7
	s_cbranch_scc1 .LBB4_728
; %bb.725:                              ;   in Loop: Header=BB4_701 Depth=1
	s_cmp_eq_u32 s7, 0
	s_cbranch_scc1 .LBB4_729
; %bb.726:                              ;   in Loop: Header=BB4_701 Depth=1
	s_mov_b64 s[18:19], 0
	v_mov_b64_e32 v[16:17], 0
	s_mov_b64 s[20:21], 0
.LBB4_727:                              ;   Parent Loop BB4_701 Depth=1
                                        ; =>  This Inner Loop Header: Depth=2
	s_add_u32 s28, s0, s20
	s_addc_u32 s29, s1, s21
	global_load_ubyte v4, v31, s[28:29]
	s_add_u32 s20, s20, 1
	s_addc_u32 s21, s21, 0
	s_waitcnt vmcnt(0)
	v_and_b32_e32 v30, 0xffff, v4
	v_lshlrev_b64 v[4:5], s18, v[30:31]
	s_add_u32 s18, s18, 8
	s_addc_u32 s19, s19, 0
	v_or_b32_e32 v16, v4, v16
	s_cmp_lg_u32 s7, s20
	v_or_b32_e32 v17, v5, v17
	s_cbranch_scc1 .LBB4_727
	s_branch .LBB4_730
.LBB4_728:                              ;   in Loop: Header=BB4_701 Depth=1
                                        ; implicit-def: $vgpr16_vgpr17
                                        ; implicit-def: $sgpr28
	s_branch .LBB4_731
.LBB4_729:                              ;   in Loop: Header=BB4_701 Depth=1
	v_mov_b64_e32 v[16:17], 0
.LBB4_730:                              ;   in Loop: Header=BB4_701 Depth=1
	s_mov_b32 s28, 0
	s_cbranch_execnz .LBB4_732
.LBB4_731:                              ;   in Loop: Header=BB4_701 Depth=1
	global_load_dwordx2 v[16:17], v31, s[0:1]
	s_add_i32 s28, s7, -8
	s_add_u32 s0, s0, 8
	s_addc_u32 s1, s1, 0
.LBB4_732:                              ;   in Loop: Header=BB4_701 Depth=1
	s_cmp_gt_u32 s28, 7
	s_cbranch_scc1 .LBB4_736
; %bb.733:                              ;   in Loop: Header=BB4_701 Depth=1
	s_cmp_eq_u32 s28, 0
	s_cbranch_scc1 .LBB4_737
; %bb.734:                              ;   in Loop: Header=BB4_701 Depth=1
	s_mov_b64 s[18:19], 0
	v_mov_b64_e32 v[18:19], 0
	s_mov_b64 s[20:21], 0
.LBB4_735:                              ;   Parent Loop BB4_701 Depth=1
                                        ; =>  This Inner Loop Header: Depth=2
	s_add_u32 s30, s0, s20
	s_addc_u32 s31, s1, s21
	global_load_ubyte v4, v31, s[30:31]
	s_add_u32 s20, s20, 1
	s_addc_u32 s21, s21, 0
	s_waitcnt vmcnt(0)
	v_and_b32_e32 v30, 0xffff, v4
	v_lshlrev_b64 v[4:5], s18, v[30:31]
	s_add_u32 s18, s18, 8
	s_addc_u32 s19, s19, 0
	v_or_b32_e32 v18, v4, v18
	s_cmp_lg_u32 s28, s20
	v_or_b32_e32 v19, v5, v19
	s_cbranch_scc1 .LBB4_735
	s_branch .LBB4_738
.LBB4_736:                              ;   in Loop: Header=BB4_701 Depth=1
                                        ; implicit-def: $sgpr7
	s_branch .LBB4_739
.LBB4_737:                              ;   in Loop: Header=BB4_701 Depth=1
	v_mov_b64_e32 v[18:19], 0
.LBB4_738:                              ;   in Loop: Header=BB4_701 Depth=1
	s_mov_b32 s7, 0
	s_cbranch_execnz .LBB4_740
.LBB4_739:                              ;   in Loop: Header=BB4_701 Depth=1
	global_load_dwordx2 v[18:19], v31, s[0:1]
	s_add_i32 s7, s28, -8
	s_add_u32 s0, s0, 8
	s_addc_u32 s1, s1, 0
.LBB4_740:                              ;   in Loop: Header=BB4_701 Depth=1
	s_cmp_gt_u32 s7, 7
	s_cbranch_scc1 .LBB4_744
; %bb.741:                              ;   in Loop: Header=BB4_701 Depth=1
	s_cmp_eq_u32 s7, 0
	s_cbranch_scc1 .LBB4_745
; %bb.742:                              ;   in Loop: Header=BB4_701 Depth=1
	s_mov_b64 s[18:19], 0
	v_mov_b64_e32 v[20:21], 0
	s_mov_b64 s[20:21], 0
.LBB4_743:                              ;   Parent Loop BB4_701 Depth=1
                                        ; =>  This Inner Loop Header: Depth=2
	s_add_u32 s28, s0, s20
	s_addc_u32 s29, s1, s21
	global_load_ubyte v4, v31, s[28:29]
	s_add_u32 s20, s20, 1
	s_addc_u32 s21, s21, 0
	s_waitcnt vmcnt(0)
	v_and_b32_e32 v30, 0xffff, v4
	v_lshlrev_b64 v[4:5], s18, v[30:31]
	s_add_u32 s18, s18, 8
	s_addc_u32 s19, s19, 0
	v_or_b32_e32 v20, v4, v20
	s_cmp_lg_u32 s7, s20
	v_or_b32_e32 v21, v5, v21
	s_cbranch_scc1 .LBB4_743
	s_branch .LBB4_746
.LBB4_744:                              ;   in Loop: Header=BB4_701 Depth=1
                                        ; implicit-def: $vgpr20_vgpr21
                                        ; implicit-def: $sgpr28
	s_branch .LBB4_747
.LBB4_745:                              ;   in Loop: Header=BB4_701 Depth=1
	v_mov_b64_e32 v[20:21], 0
.LBB4_746:                              ;   in Loop: Header=BB4_701 Depth=1
	s_mov_b32 s28, 0
	s_cbranch_execnz .LBB4_748
.LBB4_747:                              ;   in Loop: Header=BB4_701 Depth=1
	global_load_dwordx2 v[20:21], v31, s[0:1]
	s_add_i32 s28, s7, -8
	s_add_u32 s0, s0, 8
	s_addc_u32 s1, s1, 0
.LBB4_748:                              ;   in Loop: Header=BB4_701 Depth=1
	s_cmp_gt_u32 s28, 7
	s_cbranch_scc1 .LBB4_752
; %bb.749:                              ;   in Loop: Header=BB4_701 Depth=1
	s_cmp_eq_u32 s28, 0
	s_cbranch_scc1 .LBB4_753
; %bb.750:                              ;   in Loop: Header=BB4_701 Depth=1
	s_mov_b64 s[18:19], 0
	v_mov_b64_e32 v[22:23], 0
	s_mov_b64 s[20:21], s[0:1]
.LBB4_751:                              ;   Parent Loop BB4_701 Depth=1
                                        ; =>  This Inner Loop Header: Depth=2
	global_load_ubyte v4, v31, s[20:21]
	s_add_i32 s28, s28, -1
	s_waitcnt vmcnt(0)
	v_and_b32_e32 v30, 0xffff, v4
	v_lshlrev_b64 v[4:5], s18, v[30:31]
	s_add_u32 s18, s18, 8
	s_addc_u32 s19, s19, 0
	s_add_u32 s20, s20, 1
	s_addc_u32 s21, s21, 0
	v_or_b32_e32 v22, v4, v22
	s_cmp_lg_u32 s28, 0
	v_or_b32_e32 v23, v5, v23
	s_cbranch_scc1 .LBB4_751
	s_branch .LBB4_754
.LBB4_752:                              ;   in Loop: Header=BB4_701 Depth=1
	s_branch .LBB4_755
.LBB4_753:                              ;   in Loop: Header=BB4_701 Depth=1
	v_mov_b64_e32 v[22:23], 0
.LBB4_754:                              ;   in Loop: Header=BB4_701 Depth=1
	s_cbranch_execnz .LBB4_756
.LBB4_755:                              ;   in Loop: Header=BB4_701 Depth=1
	global_load_dwordx2 v[22:23], v31, s[0:1]
.LBB4_756:                              ;   in Loop: Header=BB4_701 Depth=1
	v_readfirstlane_b32 s0, v37
	s_waitcnt vmcnt(0)
	v_mov_b64_e32 v[4:5], 0
	v_cmp_eq_u32_e64 s[0:1], s0, v37
	s_and_saveexec_b64 s[18:19], s[0:1]
	s_cbranch_execz .LBB4_762
; %bb.757:                              ;   in Loop: Header=BB4_701 Depth=1
	global_load_dwordx2 v[26:27], v31, s[24:25] offset:24 sc0 sc1
	s_waitcnt vmcnt(0)
	buffer_inv sc0 sc1
	global_load_dwordx2 v[4:5], v31, s[24:25] offset:40
	global_load_dwordx2 v[8:9], v31, s[24:25]
	s_waitcnt vmcnt(1)
	v_and_b32_e32 v4, v4, v26
	v_and_b32_e32 v5, v5, v27
	v_mul_lo_u32 v5, v5, 24
	v_mul_hi_u32 v24, v4, 24
	v_add_u32_e32 v5, v24, v5
	v_mul_lo_u32 v4, v4, 24
	s_waitcnt vmcnt(0)
	v_lshl_add_u64 v[4:5], v[8:9], 0, v[4:5]
	global_load_dwordx2 v[24:25], v[4:5], off sc0 sc1
	s_waitcnt vmcnt(0)
	global_atomic_cmpswap_x2 v[4:5], v31, v[24:27], s[24:25] offset:24 sc0 sc1
	s_waitcnt vmcnt(0)
	buffer_inv sc0 sc1
	v_cmp_ne_u64_e32 vcc, v[4:5], v[26:27]
	s_and_saveexec_b64 s[20:21], vcc
	s_cbranch_execz .LBB4_761
; %bb.758:                              ;   in Loop: Header=BB4_701 Depth=1
	s_mov_b64 s[28:29], 0
.LBB4_759:                              ;   Parent Loop BB4_701 Depth=1
                                        ; =>  This Inner Loop Header: Depth=2
	s_sleep 1
	global_load_dwordx2 v[8:9], v31, s[24:25] offset:40
	global_load_dwordx2 v[24:25], v31, s[24:25]
	v_mov_b64_e32 v[26:27], v[4:5]
	s_waitcnt vmcnt(1)
	v_and_b32_e32 v4, v8, v26
	s_waitcnt vmcnt(0)
	v_mad_u64_u32 v[4:5], s[30:31], v4, 24, v[24:25]
	v_and_b32_e32 v9, v9, v27
	v_mov_b32_e32 v8, v5
	v_mad_u64_u32 v[8:9], s[30:31], v9, 24, v[8:9]
	v_mov_b32_e32 v5, v8
	global_load_dwordx2 v[24:25], v[4:5], off sc0 sc1
	s_waitcnt vmcnt(0)
	global_atomic_cmpswap_x2 v[4:5], v31, v[24:27], s[24:25] offset:24 sc0 sc1
	s_waitcnt vmcnt(0)
	buffer_inv sc0 sc1
	v_cmp_eq_u64_e32 vcc, v[4:5], v[26:27]
	s_or_b64 s[28:29], vcc, s[28:29]
	s_andn2_b64 exec, exec, s[28:29]
	s_cbranch_execnz .LBB4_759
; %bb.760:                              ;   in Loop: Header=BB4_701 Depth=1
	s_or_b64 exec, exec, s[28:29]
.LBB4_761:                              ;   in Loop: Header=BB4_701 Depth=1
	s_or_b64 exec, exec, s[20:21]
.LBB4_762:                              ;   in Loop: Header=BB4_701 Depth=1
	s_or_b64 exec, exec, s[18:19]
	global_load_dwordx2 v[8:9], v31, s[24:25] offset:40
	global_load_dwordx4 v[24:27], v31, s[24:25]
	v_readfirstlane_b32 s18, v4
	v_readfirstlane_b32 s19, v5
	s_mov_b64 s[20:21], exec
	s_waitcnt vmcnt(1)
	v_readfirstlane_b32 s28, v8
	v_readfirstlane_b32 s29, v9
	s_and_b64 s[28:29], s[18:19], s[28:29]
	s_mul_i32 s7, s29, 24
	s_mul_hi_u32 s30, s28, 24
	s_add_i32 s31, s30, s7
	s_mul_i32 s30, s28, 24
	s_waitcnt vmcnt(0)
	v_lshl_add_u64 v[32:33], v[24:25], 0, s[30:31]
	s_and_saveexec_b64 s[30:31], s[0:1]
	s_cbranch_execz .LBB4_764
; %bb.763:                              ;   in Loop: Header=BB4_701 Depth=1
	v_mov_b64_e32 v[4:5], s[20:21]
	global_store_dwordx4 v[32:33], v[4:7], off offset:8
.LBB4_764:                              ;   in Loop: Header=BB4_701 Depth=1
	s_or_b64 exec, exec, s[30:31]
	s_nop 0
	v_or_b32_e32 v5, v2, v28
	v_cmp_gt_u64_e64 vcc, s[14:15], 56
	s_lshl_b32 s7, s16, 2
	s_lshl_b64 s[20:21], s[28:29], 12
	v_cndmask_b32_e32 v2, v5, v2, vcc
	s_add_i32 s7, s7, 28
	v_lshl_add_u64 v[26:27], v[26:27], 0, s[20:21]
	v_or_b32_e32 v4, 0, v3
	s_and_b32 s7, s7, 0x1e0
	v_and_b32_e32 v2, 0xffffff1f, v2
	v_cndmask_b32_e32 v9, v4, v3, vcc
	v_or_b32_e32 v8, s7, v2
	v_readfirstlane_b32 s20, v26
	v_readfirstlane_b32 s21, v27
	s_nop 4
	global_store_dwordx4 v38, v[8:11], s[20:21]
	global_store_dwordx4 v38, v[12:15], s[20:21] offset:16
	global_store_dwordx4 v38, v[16:19], s[20:21] offset:32
	;; [unrolled: 1-line block ×3, first 2 shown]
	s_and_saveexec_b64 s[20:21], s[0:1]
	s_cbranch_execz .LBB4_772
; %bb.765:                              ;   in Loop: Header=BB4_701 Depth=1
	global_load_dwordx2 v[12:13], v31, s[24:25] offset:32 sc0 sc1
	global_load_dwordx2 v[2:3], v31, s[24:25] offset:40
	v_mov_b32_e32 v10, s18
	v_mov_b32_e32 v11, s19
	s_waitcnt vmcnt(0)
	v_readfirstlane_b32 s28, v2
	v_readfirstlane_b32 s29, v3
	s_and_b64 s[28:29], s[28:29], s[18:19]
	s_mul_i32 s7, s29, 24
	s_mul_hi_u32 s29, s28, 24
	s_mul_i32 s28, s28, 24
	s_add_i32 s29, s29, s7
	v_lshl_add_u64 v[8:9], v[24:25], 0, s[28:29]
	global_store_dwordx2 v[8:9], v[12:13], off
	buffer_wbl2 sc0 sc1
	s_waitcnt vmcnt(0)
	global_atomic_cmpswap_x2 v[4:5], v31, v[10:13], s[24:25] offset:32 sc0 sc1
	s_waitcnt vmcnt(0)
	v_cmp_ne_u64_e32 vcc, v[4:5], v[12:13]
	s_and_saveexec_b64 s[28:29], vcc
	s_cbranch_execz .LBB4_768
; %bb.766:                              ;   in Loop: Header=BB4_701 Depth=1
	s_mov_b64 s[30:31], 0
.LBB4_767:                              ;   Parent Loop BB4_701 Depth=1
                                        ; =>  This Inner Loop Header: Depth=2
	s_sleep 1
	global_store_dwordx2 v[8:9], v[4:5], off
	v_mov_b32_e32 v2, s18
	v_mov_b32_e32 v3, s19
	buffer_wbl2 sc0 sc1
	s_waitcnt vmcnt(0)
	global_atomic_cmpswap_x2 v[2:3], v31, v[2:5], s[24:25] offset:32 sc0 sc1
	s_waitcnt vmcnt(0)
	v_cmp_eq_u64_e32 vcc, v[2:3], v[4:5]
	s_or_b64 s[30:31], vcc, s[30:31]
	v_mov_b64_e32 v[4:5], v[2:3]
	s_andn2_b64 exec, exec, s[30:31]
	s_cbranch_execnz .LBB4_767
.LBB4_768:                              ;   in Loop: Header=BB4_701 Depth=1
	s_or_b64 exec, exec, s[28:29]
	global_load_dwordx2 v[2:3], v31, s[24:25] offset:16
	s_mov_b64 s[30:31], exec
	v_mbcnt_lo_u32_b32 v4, s30, 0
	v_mbcnt_hi_u32_b32 v4, s31, v4
	v_cmp_eq_u32_e32 vcc, 0, v4
	s_and_saveexec_b64 s[28:29], vcc
	s_cbranch_execz .LBB4_770
; %bb.769:                              ;   in Loop: Header=BB4_701 Depth=1
	s_bcnt1_i32_b64 s7, s[30:31]
	v_mov_b32_e32 v30, s7
	buffer_wbl2 sc0 sc1
	s_waitcnt vmcnt(0)
	global_atomic_add_x2 v[2:3], v[30:31], off offset:8 sc1
.LBB4_770:                              ;   in Loop: Header=BB4_701 Depth=1
	s_or_b64 exec, exec, s[28:29]
	s_waitcnt vmcnt(0)
	global_load_dwordx2 v[4:5], v[2:3], off offset:16
	s_waitcnt vmcnt(0)
	v_cmp_eq_u64_e32 vcc, 0, v[4:5]
	s_cbranch_vccnz .LBB4_772
; %bb.771:                              ;   in Loop: Header=BB4_701 Depth=1
	global_load_dword v30, v[2:3], off offset:24
	s_waitcnt vmcnt(0)
	v_and_b32_e32 v2, 0xffffff, v30
	s_nop 0
	v_readfirstlane_b32 m0, v2
	buffer_wbl2 sc0 sc1
	global_store_dwordx2 v[4:5], v[30:31], off sc0 sc1
	s_sendmsg sendmsg(MSG_INTERRUPT)
.LBB4_772:                              ;   in Loop: Header=BB4_701 Depth=1
	s_or_b64 exec, exec, s[20:21]
	v_mov_b32_e32 v39, v31
	v_lshl_add_u64 v[2:3], v[26:27], 0, v[38:39]
	s_branch .LBB4_776
.LBB4_773:                              ;   in Loop: Header=BB4_776 Depth=2
	s_or_b64 exec, exec, s[20:21]
	v_readfirstlane_b32 s7, v4
	s_cmp_eq_u32 s7, 0
	s_cbranch_scc1 .LBB4_775
; %bb.774:                              ;   in Loop: Header=BB4_776 Depth=2
	s_sleep 1
	s_cbranch_execnz .LBB4_776
	s_branch .LBB4_778
.LBB4_775:                              ;   in Loop: Header=BB4_701 Depth=1
	s_branch .LBB4_778
.LBB4_776:                              ;   Parent Loop BB4_701 Depth=1
                                        ; =>  This Inner Loop Header: Depth=2
	v_mov_b32_e32 v4, 1
	s_and_saveexec_b64 s[20:21], s[0:1]
	s_cbranch_execz .LBB4_773
; %bb.777:                              ;   in Loop: Header=BB4_776 Depth=2
	global_load_dword v4, v[32:33], off offset:20 sc0 sc1
	s_waitcnt vmcnt(0)
	buffer_inv sc0 sc1
	v_and_b32_e32 v4, 1, v4
	s_branch .LBB4_773
.LBB4_778:                              ;   in Loop: Header=BB4_701 Depth=1
	global_load_dwordx4 v[2:5], v[2:3], off
	s_and_saveexec_b64 s[20:21], s[0:1]
	s_cbranch_execz .LBB4_700
; %bb.779:                              ;   in Loop: Header=BB4_701 Depth=1
	global_load_dwordx2 v[4:5], v31, s[24:25] offset:40
	global_load_dwordx2 v[12:13], v31, s[24:25] offset:24 sc0 sc1
	global_load_dwordx2 v[14:15], v31, s[24:25]
	s_waitcnt vmcnt(2)
	v_lshl_add_u64 v[8:9], v[4:5], 0, 1
	v_lshl_add_u64 v[16:17], v[8:9], 0, s[18:19]
	v_cmp_eq_u64_e32 vcc, 0, v[16:17]
	s_waitcnt vmcnt(1)
	v_mov_b32_e32 v10, v12
	v_cndmask_b32_e32 v9, v17, v9, vcc
	v_cndmask_b32_e32 v8, v16, v8, vcc
	v_and_b32_e32 v5, v9, v5
	v_and_b32_e32 v4, v8, v4
	v_mul_lo_u32 v5, v5, 24
	v_mul_hi_u32 v11, v4, 24
	v_mul_lo_u32 v4, v4, 24
	v_add_u32_e32 v5, v11, v5
	s_waitcnt vmcnt(0)
	v_lshl_add_u64 v[4:5], v[14:15], 0, v[4:5]
	global_store_dwordx2 v[4:5], v[12:13], off
	v_mov_b32_e32 v11, v13
	buffer_wbl2 sc0 sc1
	s_waitcnt vmcnt(0)
	global_atomic_cmpswap_x2 v[10:11], v31, v[8:11], s[24:25] offset:24 sc0 sc1
	s_waitcnt vmcnt(0)
	v_cmp_ne_u64_e32 vcc, v[10:11], v[12:13]
	s_and_b64 exec, exec, vcc
	s_cbranch_execz .LBB4_700
; %bb.780:                              ;   in Loop: Header=BB4_701 Depth=1
	s_mov_b64 s[0:1], 0
.LBB4_781:                              ;   Parent Loop BB4_701 Depth=1
                                        ; =>  This Inner Loop Header: Depth=2
	s_sleep 1
	global_store_dwordx2 v[4:5], v[10:11], off
	buffer_wbl2 sc0 sc1
	s_waitcnt vmcnt(0)
	global_atomic_cmpswap_x2 v[12:13], v31, v[8:11], s[24:25] offset:24 sc0 sc1
	s_waitcnt vmcnt(0)
	v_cmp_eq_u64_e32 vcc, v[12:13], v[10:11]
	s_or_b64 s[0:1], vcc, s[0:1]
	v_mov_b64_e32 v[10:11], v[12:13]
	s_andn2_b64 exec, exec, s[0:1]
	s_cbranch_execnz .LBB4_781
	s_branch .LBB4_700
.LBB4_782:
	s_branch .LBB4_810
.LBB4_783:
                                        ; implicit-def: $vgpr2_vgpr3
	s_cbranch_execz .LBB4_810
; %bb.784:
	v_readfirstlane_b32 s0, v37
	s_waitcnt vmcnt(0)
	v_mov_b64_e32 v[2:3], 0
	v_cmp_eq_u32_e64 s[0:1], s0, v37
	s_and_saveexec_b64 s[12:13], s[0:1]
	s_cbranch_execz .LBB4_790
; %bb.785:
	v_mov_b32_e32 v4, 0
	global_load_dwordx2 v[8:9], v4, s[24:25] offset:24 sc0 sc1
	s_waitcnt vmcnt(0)
	buffer_inv sc0 sc1
	global_load_dwordx2 v[2:3], v4, s[24:25] offset:40
	global_load_dwordx2 v[6:7], v4, s[24:25]
	s_waitcnt vmcnt(1)
	v_and_b32_e32 v2, v2, v8
	v_and_b32_e32 v3, v3, v9
	v_mul_lo_u32 v3, v3, 24
	v_mul_hi_u32 v5, v2, 24
	v_add_u32_e32 v3, v5, v3
	v_mul_lo_u32 v2, v2, 24
	s_waitcnt vmcnt(0)
	v_lshl_add_u64 v[2:3], v[6:7], 0, v[2:3]
	global_load_dwordx2 v[6:7], v[2:3], off sc0 sc1
	s_waitcnt vmcnt(0)
	global_atomic_cmpswap_x2 v[2:3], v4, v[6:9], s[24:25] offset:24 sc0 sc1
	s_waitcnt vmcnt(0)
	buffer_inv sc0 sc1
	v_cmp_ne_u64_e32 vcc, v[2:3], v[8:9]
	s_and_saveexec_b64 s[14:15], vcc
	s_cbranch_execz .LBB4_789
; %bb.786:
	s_mov_b64 s[16:17], 0
.LBB4_787:                              ; =>This Inner Loop Header: Depth=1
	s_sleep 1
	global_load_dwordx2 v[6:7], v4, s[24:25] offset:40
	global_load_dwordx2 v[10:11], v4, s[24:25]
	v_mov_b64_e32 v[8:9], v[2:3]
	s_waitcnt vmcnt(1)
	v_and_b32_e32 v2, v6, v8
	s_waitcnt vmcnt(0)
	v_mad_u64_u32 v[2:3], s[18:19], v2, 24, v[10:11]
	v_and_b32_e32 v5, v7, v9
	v_mov_b32_e32 v6, v3
	v_mad_u64_u32 v[6:7], s[18:19], v5, 24, v[6:7]
	v_mov_b32_e32 v3, v6
	global_load_dwordx2 v[6:7], v[2:3], off sc0 sc1
	s_waitcnt vmcnt(0)
	global_atomic_cmpswap_x2 v[2:3], v4, v[6:9], s[24:25] offset:24 sc0 sc1
	s_waitcnt vmcnt(0)
	buffer_inv sc0 sc1
	v_cmp_eq_u64_e32 vcc, v[2:3], v[8:9]
	s_or_b64 s[16:17], vcc, s[16:17]
	s_andn2_b64 exec, exec, s[16:17]
	s_cbranch_execnz .LBB4_787
; %bb.788:
	s_or_b64 exec, exec, s[16:17]
.LBB4_789:
	s_or_b64 exec, exec, s[14:15]
.LBB4_790:
	s_or_b64 exec, exec, s[12:13]
	v_mov_b32_e32 v39, 0
	global_load_dwordx2 v[8:9], v39, s[24:25] offset:40
	global_load_dwordx4 v[4:7], v39, s[24:25]
	v_readfirstlane_b32 s12, v2
	v_readfirstlane_b32 s13, v3
	s_mov_b64 s[14:15], exec
	s_waitcnt vmcnt(1)
	v_readfirstlane_b32 s16, v8
	v_readfirstlane_b32 s17, v9
	s_and_b64 s[16:17], s[12:13], s[16:17]
	s_mul_i32 s7, s17, 24
	s_mul_hi_u32 s18, s16, 24
	s_add_i32 s19, s18, s7
	s_mul_i32 s18, s16, 24
	s_waitcnt vmcnt(0)
	v_lshl_add_u64 v[8:9], v[4:5], 0, s[18:19]
	s_and_saveexec_b64 s[18:19], s[0:1]
	s_cbranch_execz .LBB4_792
; %bb.791:
	v_mov_b64_e32 v[10:11], s[14:15]
	v_mov_b32_e32 v12, 2
	v_mov_b32_e32 v13, 1
	global_store_dwordx4 v[8:9], v[10:13], off offset:8
.LBB4_792:
	s_or_b64 exec, exec, s[18:19]
	s_lshl_b64 s[14:15], s[16:17], 12
	v_lshl_add_u64 v[6:7], v[6:7], 0, s[14:15]
	s_movk_i32 s7, 0xff1f
	s_mov_b32 s16, 0
	v_and_or_b32 v0, v0, s7, 32
	v_mov_b32_e32 v2, v39
	v_mov_b32_e32 v3, v39
	v_readfirstlane_b32 s14, v6
	v_readfirstlane_b32 s15, v7
	s_mov_b32 s17, s16
	s_mov_b32 s18, s16
	;; [unrolled: 1-line block ×3, first 2 shown]
	s_nop 1
	global_store_dwordx4 v38, v[0:3], s[14:15]
	s_nop 1
	v_mov_b64_e32 v[0:1], s[16:17]
	v_mov_b64_e32 v[2:3], s[18:19]
	global_store_dwordx4 v38, v[0:3], s[14:15] offset:16
	global_store_dwordx4 v38, v[0:3], s[14:15] offset:32
	;; [unrolled: 1-line block ×3, first 2 shown]
	s_and_saveexec_b64 s[14:15], s[0:1]
	s_cbranch_execz .LBB4_800
; %bb.793:
	v_mov_b32_e32 v10, 0
	global_load_dwordx2 v[14:15], v10, s[24:25] offset:32 sc0 sc1
	global_load_dwordx2 v[0:1], v10, s[24:25] offset:40
	v_mov_b32_e32 v12, s12
	v_mov_b32_e32 v13, s13
	s_waitcnt vmcnt(0)
	v_readfirstlane_b32 s16, v0
	v_readfirstlane_b32 s17, v1
	s_and_b64 s[16:17], s[16:17], s[12:13]
	s_mul_i32 s7, s17, 24
	s_mul_hi_u32 s17, s16, 24
	s_mul_i32 s16, s16, 24
	s_add_i32 s17, s17, s7
	v_lshl_add_u64 v[4:5], v[4:5], 0, s[16:17]
	global_store_dwordx2 v[4:5], v[14:15], off
	buffer_wbl2 sc0 sc1
	s_waitcnt vmcnt(0)
	global_atomic_cmpswap_x2 v[2:3], v10, v[12:15], s[24:25] offset:32 sc0 sc1
	s_waitcnt vmcnt(0)
	v_cmp_ne_u64_e32 vcc, v[2:3], v[14:15]
	s_and_saveexec_b64 s[16:17], vcc
	s_cbranch_execz .LBB4_796
; %bb.794:
	s_mov_b64 s[18:19], 0
.LBB4_795:                              ; =>This Inner Loop Header: Depth=1
	s_sleep 1
	global_store_dwordx2 v[4:5], v[2:3], off
	v_mov_b32_e32 v0, s12
	v_mov_b32_e32 v1, s13
	buffer_wbl2 sc0 sc1
	s_waitcnt vmcnt(0)
	global_atomic_cmpswap_x2 v[0:1], v10, v[0:3], s[24:25] offset:32 sc0 sc1
	s_waitcnt vmcnt(0)
	v_cmp_eq_u64_e32 vcc, v[0:1], v[2:3]
	s_or_b64 s[18:19], vcc, s[18:19]
	v_mov_b64_e32 v[2:3], v[0:1]
	s_andn2_b64 exec, exec, s[18:19]
	s_cbranch_execnz .LBB4_795
.LBB4_796:
	s_or_b64 exec, exec, s[16:17]
	v_mov_b32_e32 v3, 0
	global_load_dwordx2 v[0:1], v3, s[24:25] offset:16
	s_mov_b64 s[16:17], exec
	v_mbcnt_lo_u32_b32 v2, s16, 0
	v_mbcnt_hi_u32_b32 v2, s17, v2
	v_cmp_eq_u32_e32 vcc, 0, v2
	s_and_saveexec_b64 s[18:19], vcc
	s_cbranch_execz .LBB4_798
; %bb.797:
	s_bcnt1_i32_b64 s7, s[16:17]
	v_mov_b32_e32 v2, s7
	buffer_wbl2 sc0 sc1
	s_waitcnt vmcnt(0)
	global_atomic_add_x2 v[0:1], v[2:3], off offset:8 sc1
.LBB4_798:
	s_or_b64 exec, exec, s[18:19]
	s_waitcnt vmcnt(0)
	global_load_dwordx2 v[2:3], v[0:1], off offset:16
	s_waitcnt vmcnt(0)
	v_cmp_eq_u64_e32 vcc, 0, v[2:3]
	s_cbranch_vccnz .LBB4_800
; %bb.799:
	global_load_dword v0, v[0:1], off offset:24
	v_mov_b32_e32 v1, 0
	buffer_wbl2 sc0 sc1
	s_waitcnt vmcnt(0)
	global_store_dwordx2 v[2:3], v[0:1], off sc0 sc1
	v_and_b32_e32 v0, 0xffffff, v0
	s_nop 0
	v_readfirstlane_b32 m0, v0
	s_sendmsg sendmsg(MSG_INTERRUPT)
.LBB4_800:
	s_or_b64 exec, exec, s[14:15]
	v_lshl_add_u64 v[0:1], v[6:7], 0, v[38:39]
	s_branch .LBB4_804
.LBB4_801:                              ;   in Loop: Header=BB4_804 Depth=1
	s_or_b64 exec, exec, s[14:15]
	v_readfirstlane_b32 s7, v2
	s_cmp_eq_u32 s7, 0
	s_cbranch_scc1 .LBB4_803
; %bb.802:                              ;   in Loop: Header=BB4_804 Depth=1
	s_sleep 1
	s_cbranch_execnz .LBB4_804
	s_branch .LBB4_806
.LBB4_803:
	s_branch .LBB4_806
.LBB4_804:                              ; =>This Inner Loop Header: Depth=1
	v_mov_b32_e32 v2, 1
	s_and_saveexec_b64 s[14:15], s[0:1]
	s_cbranch_execz .LBB4_801
; %bb.805:                              ;   in Loop: Header=BB4_804 Depth=1
	global_load_dword v2, v[8:9], off offset:20 sc0 sc1
	s_waitcnt vmcnt(0)
	buffer_inv sc0 sc1
	v_and_b32_e32 v2, 1, v2
	s_branch .LBB4_801
.LBB4_806:
	global_load_dwordx2 v[2:3], v[0:1], off
	s_and_saveexec_b64 s[14:15], s[0:1]
	s_cbranch_execz .LBB4_809
; %bb.807:
	v_mov_b32_e32 v8, 0
	global_load_dwordx2 v[0:1], v8, s[24:25] offset:40
	global_load_dwordx2 v[10:11], v8, s[24:25] offset:24 sc0 sc1
	global_load_dwordx2 v[12:13], v8, s[24:25]
	s_mov_b64 s[0:1], 0
	s_waitcnt vmcnt(2)
	v_lshl_add_u64 v[4:5], v[0:1], 0, 1
	v_lshl_add_u64 v[14:15], v[4:5], 0, s[12:13]
	v_cmp_eq_u64_e32 vcc, 0, v[14:15]
	s_waitcnt vmcnt(1)
	v_mov_b32_e32 v6, v10
	v_cndmask_b32_e32 v5, v15, v5, vcc
	v_cndmask_b32_e32 v4, v14, v4, vcc
	v_and_b32_e32 v1, v5, v1
	v_and_b32_e32 v0, v4, v0
	v_mul_lo_u32 v1, v1, 24
	v_mul_hi_u32 v7, v0, 24
	v_mul_lo_u32 v0, v0, 24
	v_add_u32_e32 v1, v7, v1
	s_waitcnt vmcnt(0)
	v_lshl_add_u64 v[0:1], v[12:13], 0, v[0:1]
	global_store_dwordx2 v[0:1], v[10:11], off
	v_mov_b32_e32 v7, v11
	buffer_wbl2 sc0 sc1
	s_waitcnt vmcnt(0)
	global_atomic_cmpswap_x2 v[6:7], v8, v[4:7], s[24:25] offset:24 sc0 sc1
	s_waitcnt vmcnt(0)
	v_cmp_ne_u64_e32 vcc, v[6:7], v[10:11]
	s_and_b64 exec, exec, vcc
	s_cbranch_execz .LBB4_809
.LBB4_808:                              ; =>This Inner Loop Header: Depth=1
	s_sleep 1
	global_store_dwordx2 v[0:1], v[6:7], off
	buffer_wbl2 sc0 sc1
	s_waitcnt vmcnt(0)
	global_atomic_cmpswap_x2 v[10:11], v8, v[4:7], s[24:25] offset:24 sc0 sc1
	s_waitcnt vmcnt(0)
	v_cmp_eq_u64_e32 vcc, v[10:11], v[6:7]
	s_or_b64 s[0:1], vcc, s[0:1]
	v_mov_b64_e32 v[6:7], v[10:11]
	s_andn2_b64 exec, exec, s[0:1]
	s_cbranch_execnz .LBB4_808
.LBB4_809:
	s_or_b64 exec, exec, s[14:15]
.LBB4_810:
	v_readfirstlane_b32 s0, v37
	s_waitcnt vmcnt(0)
	v_mov_b64_e32 v[0:1], 0
	v_cmp_eq_u32_e64 s[0:1], s0, v37
	s_and_saveexec_b64 s[12:13], s[0:1]
	s_cbranch_execz .LBB4_816
; %bb.811:
	v_mov_b32_e32 v4, 0
	global_load_dwordx2 v[8:9], v4, s[24:25] offset:24 sc0 sc1
	s_waitcnt vmcnt(0)
	buffer_inv sc0 sc1
	global_load_dwordx2 v[0:1], v4, s[24:25] offset:40
	global_load_dwordx2 v[6:7], v4, s[24:25]
	s_waitcnt vmcnt(1)
	v_and_b32_e32 v0, v0, v8
	v_and_b32_e32 v1, v1, v9
	v_mul_lo_u32 v1, v1, 24
	v_mul_hi_u32 v5, v0, 24
	v_add_u32_e32 v1, v5, v1
	v_mul_lo_u32 v0, v0, 24
	s_waitcnt vmcnt(0)
	v_lshl_add_u64 v[0:1], v[6:7], 0, v[0:1]
	global_load_dwordx2 v[6:7], v[0:1], off sc0 sc1
	s_waitcnt vmcnt(0)
	global_atomic_cmpswap_x2 v[0:1], v4, v[6:9], s[24:25] offset:24 sc0 sc1
	s_waitcnt vmcnt(0)
	buffer_inv sc0 sc1
	v_cmp_ne_u64_e32 vcc, v[0:1], v[8:9]
	s_and_saveexec_b64 s[14:15], vcc
	s_cbranch_execz .LBB4_815
; %bb.812:
	s_mov_b64 s[16:17], 0
.LBB4_813:                              ; =>This Inner Loop Header: Depth=1
	s_sleep 1
	global_load_dwordx2 v[6:7], v4, s[24:25] offset:40
	global_load_dwordx2 v[10:11], v4, s[24:25]
	v_mov_b64_e32 v[8:9], v[0:1]
	s_waitcnt vmcnt(1)
	v_and_b32_e32 v0, v6, v8
	s_waitcnt vmcnt(0)
	v_mad_u64_u32 v[0:1], s[18:19], v0, 24, v[10:11]
	v_and_b32_e32 v5, v7, v9
	v_mov_b32_e32 v6, v1
	v_mad_u64_u32 v[6:7], s[18:19], v5, 24, v[6:7]
	v_mov_b32_e32 v1, v6
	global_load_dwordx2 v[6:7], v[0:1], off sc0 sc1
	s_waitcnt vmcnt(0)
	global_atomic_cmpswap_x2 v[0:1], v4, v[6:9], s[24:25] offset:24 sc0 sc1
	s_waitcnt vmcnt(0)
	buffer_inv sc0 sc1
	v_cmp_eq_u64_e32 vcc, v[0:1], v[8:9]
	s_or_b64 s[16:17], vcc, s[16:17]
	s_andn2_b64 exec, exec, s[16:17]
	s_cbranch_execnz .LBB4_813
; %bb.814:
	s_or_b64 exec, exec, s[16:17]
.LBB4_815:
	s_or_b64 exec, exec, s[14:15]
.LBB4_816:
	s_or_b64 exec, exec, s[12:13]
	v_mov_b32_e32 v5, 0
	global_load_dwordx2 v[10:11], v5, s[24:25] offset:40
	global_load_dwordx4 v[6:9], v5, s[24:25]
	v_readfirstlane_b32 s12, v0
	v_readfirstlane_b32 s13, v1
	s_mov_b64 s[14:15], exec
	s_waitcnt vmcnt(1)
	v_readfirstlane_b32 s16, v10
	v_readfirstlane_b32 s17, v11
	s_and_b64 s[16:17], s[12:13], s[16:17]
	s_mul_i32 s7, s17, 24
	s_mul_hi_u32 s18, s16, 24
	s_add_i32 s19, s18, s7
	s_mul_i32 s18, s16, 24
	s_waitcnt vmcnt(0)
	v_lshl_add_u64 v[10:11], v[6:7], 0, s[18:19]
	s_and_saveexec_b64 s[18:19], s[0:1]
	s_cbranch_execz .LBB4_818
; %bb.817:
	v_mov_b64_e32 v[12:13], s[14:15]
	v_mov_b32_e32 v14, 2
	v_mov_b32_e32 v15, 1
	global_store_dwordx4 v[10:11], v[12:15], off offset:8
.LBB4_818:
	s_or_b64 exec, exec, s[18:19]
	s_lshl_b64 s[14:15], s[16:17], 12
	v_lshl_add_u64 v[0:1], v[8:9], 0, s[14:15]
	s_movk_i32 s7, 0xff1d
	s_mov_b32 s16, 0
	v_and_or_b32 v2, v2, s7, 34
	v_mov_b32_e32 v4, 58
	v_readfirstlane_b32 s14, v0
	v_readfirstlane_b32 s15, v1
	s_mov_b32 s17, s16
	s_mov_b32 s18, s16
	;; [unrolled: 1-line block ×3, first 2 shown]
	s_nop 1
	global_store_dwordx4 v38, v[2:5], s[14:15]
	v_mov_b64_e32 v[0:1], s[16:17]
	s_nop 0
	v_mov_b64_e32 v[2:3], s[18:19]
	global_store_dwordx4 v38, v[0:3], s[14:15] offset:16
	global_store_dwordx4 v38, v[0:3], s[14:15] offset:32
	;; [unrolled: 1-line block ×3, first 2 shown]
	s_and_saveexec_b64 s[14:15], s[0:1]
	s_cbranch_execz .LBB4_826
; %bb.819:
	v_mov_b32_e32 v8, 0
	global_load_dwordx2 v[14:15], v8, s[24:25] offset:32 sc0 sc1
	global_load_dwordx2 v[0:1], v8, s[24:25] offset:40
	v_mov_b32_e32 v12, s12
	v_mov_b32_e32 v13, s13
	s_waitcnt vmcnt(0)
	v_readfirstlane_b32 s16, v0
	v_readfirstlane_b32 s17, v1
	s_and_b64 s[16:17], s[16:17], s[12:13]
	s_mul_i32 s7, s17, 24
	s_mul_hi_u32 s17, s16, 24
	s_mul_i32 s16, s16, 24
	s_add_i32 s17, s17, s7
	v_lshl_add_u64 v[4:5], v[6:7], 0, s[16:17]
	global_store_dwordx2 v[4:5], v[14:15], off
	buffer_wbl2 sc0 sc1
	s_waitcnt vmcnt(0)
	global_atomic_cmpswap_x2 v[2:3], v8, v[12:15], s[24:25] offset:32 sc0 sc1
	s_waitcnt vmcnt(0)
	v_cmp_ne_u64_e32 vcc, v[2:3], v[14:15]
	s_and_saveexec_b64 s[16:17], vcc
	s_cbranch_execz .LBB4_822
; %bb.820:
	s_mov_b64 s[18:19], 0
.LBB4_821:                              ; =>This Inner Loop Header: Depth=1
	s_sleep 1
	global_store_dwordx2 v[4:5], v[2:3], off
	v_mov_b32_e32 v0, s12
	v_mov_b32_e32 v1, s13
	buffer_wbl2 sc0 sc1
	s_waitcnt vmcnt(0)
	global_atomic_cmpswap_x2 v[0:1], v8, v[0:3], s[24:25] offset:32 sc0 sc1
	s_waitcnt vmcnt(0)
	v_cmp_eq_u64_e32 vcc, v[0:1], v[2:3]
	s_or_b64 s[18:19], vcc, s[18:19]
	v_mov_b64_e32 v[2:3], v[0:1]
	s_andn2_b64 exec, exec, s[18:19]
	s_cbranch_execnz .LBB4_821
.LBB4_822:
	s_or_b64 exec, exec, s[16:17]
	v_mov_b32_e32 v3, 0
	global_load_dwordx2 v[0:1], v3, s[24:25] offset:16
	s_mov_b64 s[16:17], exec
	v_mbcnt_lo_u32_b32 v2, s16, 0
	v_mbcnt_hi_u32_b32 v2, s17, v2
	v_cmp_eq_u32_e32 vcc, 0, v2
	s_and_saveexec_b64 s[18:19], vcc
	s_cbranch_execz .LBB4_824
; %bb.823:
	s_bcnt1_i32_b64 s7, s[16:17]
	v_mov_b32_e32 v2, s7
	buffer_wbl2 sc0 sc1
	s_waitcnt vmcnt(0)
	global_atomic_add_x2 v[0:1], v[2:3], off offset:8 sc1
.LBB4_824:
	s_or_b64 exec, exec, s[18:19]
	s_waitcnt vmcnt(0)
	global_load_dwordx2 v[2:3], v[0:1], off offset:16
	s_waitcnt vmcnt(0)
	v_cmp_eq_u64_e32 vcc, 0, v[2:3]
	s_cbranch_vccnz .LBB4_826
; %bb.825:
	global_load_dword v0, v[0:1], off offset:24
	v_mov_b32_e32 v1, 0
	buffer_wbl2 sc0 sc1
	s_waitcnt vmcnt(0)
	global_store_dwordx2 v[2:3], v[0:1], off sc0 sc1
	v_and_b32_e32 v0, 0xffffff, v0
	s_nop 0
	v_readfirstlane_b32 m0, v0
	s_sendmsg sendmsg(MSG_INTERRUPT)
.LBB4_826:
	s_or_b64 exec, exec, s[14:15]
	s_branch .LBB4_830
.LBB4_827:                              ;   in Loop: Header=BB4_830 Depth=1
	s_or_b64 exec, exec, s[14:15]
	v_readfirstlane_b32 s7, v0
	s_cmp_eq_u32 s7, 0
	s_cbranch_scc1 .LBB4_829
; %bb.828:                              ;   in Loop: Header=BB4_830 Depth=1
	s_sleep 1
	s_cbranch_execnz .LBB4_830
	s_branch .LBB4_832
.LBB4_829:
	s_branch .LBB4_832
.LBB4_830:                              ; =>This Inner Loop Header: Depth=1
	v_mov_b32_e32 v0, 1
	s_and_saveexec_b64 s[14:15], s[0:1]
	s_cbranch_execz .LBB4_827
; %bb.831:                              ;   in Loop: Header=BB4_830 Depth=1
	global_load_dword v0, v[10:11], off offset:20 sc0 sc1
	s_waitcnt vmcnt(0)
	buffer_inv sc0 sc1
	v_and_b32_e32 v0, 1, v0
	s_branch .LBB4_827
.LBB4_832:
	s_and_saveexec_b64 s[14:15], s[0:1]
	s_cbranch_execz .LBB4_835
; %bb.833:
	v_mov_b32_e32 v6, 0
	global_load_dwordx2 v[4:5], v6, s[24:25] offset:40
	global_load_dwordx2 v[8:9], v6, s[24:25] offset:24 sc0 sc1
	global_load_dwordx2 v[10:11], v6, s[24:25]
	s_mov_b64 s[0:1], 0
	s_waitcnt vmcnt(2)
	v_lshl_add_u64 v[0:1], v[4:5], 0, 1
	v_lshl_add_u64 v[12:13], v[0:1], 0, s[12:13]
	v_cmp_eq_u64_e32 vcc, 0, v[12:13]
	s_waitcnt vmcnt(1)
	v_mov_b32_e32 v2, v8
	v_cndmask_b32_e32 v1, v13, v1, vcc
	v_cndmask_b32_e32 v0, v12, v0, vcc
	v_and_b32_e32 v3, v1, v5
	v_and_b32_e32 v4, v0, v4
	v_mul_lo_u32 v3, v3, 24
	v_mul_hi_u32 v5, v4, 24
	v_mul_lo_u32 v4, v4, 24
	v_add_u32_e32 v5, v5, v3
	s_waitcnt vmcnt(0)
	v_lshl_add_u64 v[4:5], v[10:11], 0, v[4:5]
	global_store_dwordx2 v[4:5], v[8:9], off
	v_mov_b32_e32 v3, v9
	buffer_wbl2 sc0 sc1
	s_waitcnt vmcnt(0)
	global_atomic_cmpswap_x2 v[2:3], v6, v[0:3], s[24:25] offset:24 sc0 sc1
	s_waitcnt vmcnt(0)
	v_cmp_ne_u64_e32 vcc, v[2:3], v[8:9]
	s_and_b64 exec, exec, vcc
	s_cbranch_execz .LBB4_835
.LBB4_834:                              ; =>This Inner Loop Header: Depth=1
	s_sleep 1
	global_store_dwordx2 v[4:5], v[2:3], off
	buffer_wbl2 sc0 sc1
	s_waitcnt vmcnt(0)
	global_atomic_cmpswap_x2 v[8:9], v6, v[0:3], s[24:25] offset:24 sc0 sc1
	s_waitcnt vmcnt(0)
	v_cmp_eq_u64_e32 vcc, v[8:9], v[2:3]
	s_or_b64 s[0:1], vcc, s[0:1]
	v_mov_b64_e32 v[2:3], v[8:9]
	s_andn2_b64 exec, exec, s[0:1]
	s_cbranch_execnz .LBB4_834
.LBB4_835:
	s_or_b64 exec, exec, s[14:15]
	v_readfirstlane_b32 s0, v37
	v_mov_b64_e32 v[4:5], 0
	s_nop 0
	v_cmp_eq_u32_e64 s[0:1], s0, v37
	s_and_saveexec_b64 s[12:13], s[0:1]
	s_cbranch_execz .LBB4_841
; %bb.836:
	v_mov_b32_e32 v0, 0
	global_load_dwordx2 v[6:7], v0, s[24:25] offset:24 sc0 sc1
	s_waitcnt vmcnt(0)
	buffer_inv sc0 sc1
	global_load_dwordx2 v[2:3], v0, s[24:25] offset:40
	global_load_dwordx2 v[4:5], v0, s[24:25]
	s_waitcnt vmcnt(1)
	v_and_b32_e32 v1, v2, v6
	v_and_b32_e32 v2, v3, v7
	v_mul_lo_u32 v2, v2, 24
	v_mul_hi_u32 v3, v1, 24
	v_add_u32_e32 v3, v3, v2
	v_mul_lo_u32 v2, v1, 24
	s_waitcnt vmcnt(0)
	v_lshl_add_u64 v[2:3], v[4:5], 0, v[2:3]
	global_load_dwordx2 v[4:5], v[2:3], off sc0 sc1
	s_waitcnt vmcnt(0)
	global_atomic_cmpswap_x2 v[4:5], v0, v[4:7], s[24:25] offset:24 sc0 sc1
	s_waitcnt vmcnt(0)
	buffer_inv sc0 sc1
	v_cmp_ne_u64_e32 vcc, v[4:5], v[6:7]
	s_and_saveexec_b64 s[14:15], vcc
	s_cbranch_execz .LBB4_840
; %bb.837:
	s_mov_b64 s[16:17], 0
.LBB4_838:                              ; =>This Inner Loop Header: Depth=1
	s_sleep 1
	global_load_dwordx2 v[2:3], v0, s[24:25] offset:40
	global_load_dwordx2 v[8:9], v0, s[24:25]
	v_mov_b64_e32 v[6:7], v[4:5]
	s_waitcnt vmcnt(1)
	v_and_b32_e32 v2, v2, v6
	v_and_b32_e32 v1, v3, v7
	s_waitcnt vmcnt(0)
	v_mad_u64_u32 v[2:3], s[18:19], v2, 24, v[8:9]
	v_mov_b32_e32 v4, v3
	v_mad_u64_u32 v[4:5], s[18:19], v1, 24, v[4:5]
	v_mov_b32_e32 v3, v4
	global_load_dwordx2 v[4:5], v[2:3], off sc0 sc1
	s_waitcnt vmcnt(0)
	global_atomic_cmpswap_x2 v[4:5], v0, v[4:7], s[24:25] offset:24 sc0 sc1
	s_waitcnt vmcnt(0)
	buffer_inv sc0 sc1
	v_cmp_eq_u64_e32 vcc, v[4:5], v[6:7]
	s_or_b64 s[16:17], vcc, s[16:17]
	s_andn2_b64 exec, exec, s[16:17]
	s_cbranch_execnz .LBB4_838
; %bb.839:
	s_or_b64 exec, exec, s[16:17]
.LBB4_840:
	s_or_b64 exec, exec, s[14:15]
.LBB4_841:
	s_or_b64 exec, exec, s[12:13]
	v_mov_b32_e32 v39, 0
	global_load_dwordx2 v[6:7], v39, s[24:25] offset:40
	global_load_dwordx4 v[0:3], v39, s[24:25]
	v_readfirstlane_b32 s12, v4
	v_readfirstlane_b32 s13, v5
	s_mov_b64 s[14:15], exec
	s_waitcnt vmcnt(1)
	v_readfirstlane_b32 s16, v6
	v_readfirstlane_b32 s17, v7
	s_and_b64 s[16:17], s[12:13], s[16:17]
	s_mul_i32 s7, s17, 24
	s_mul_hi_u32 s18, s16, 24
	s_add_i32 s19, s18, s7
	s_mul_i32 s18, s16, 24
	s_waitcnt vmcnt(0)
	v_lshl_add_u64 v[4:5], v[0:1], 0, s[18:19]
	s_and_saveexec_b64 s[18:19], s[0:1]
	s_cbranch_execz .LBB4_843
; %bb.842:
	v_mov_b64_e32 v[6:7], s[14:15]
	v_mov_b32_e32 v8, 2
	v_mov_b32_e32 v9, 1
	global_store_dwordx4 v[4:5], v[6:9], off offset:8
.LBB4_843:
	s_or_b64 exec, exec, s[18:19]
	s_lshl_b64 s[14:15], s[16:17], 12
	v_lshl_add_u64 v[6:7], v[2:3], 0, s[14:15]
	s_mov_b32 s16, 0
	v_mov_b32_e32 v8, 33
	v_mov_b32_e32 v9, v39
	;; [unrolled: 1-line block ×4, first 2 shown]
	v_readfirstlane_b32 s14, v6
	v_readfirstlane_b32 s15, v7
	s_mov_b32 s17, s16
	s_mov_b32 s18, s16
	s_mov_b32 s19, s16
	s_nop 1
	global_store_dwordx4 v38, v[8:11], s[14:15]
	s_nop 1
	v_mov_b64_e32 v[8:9], s[16:17]
	v_mov_b64_e32 v[10:11], s[18:19]
	global_store_dwordx4 v38, v[8:11], s[14:15] offset:16
	global_store_dwordx4 v38, v[8:11], s[14:15] offset:32
	;; [unrolled: 1-line block ×3, first 2 shown]
	s_and_saveexec_b64 s[14:15], s[0:1]
	s_cbranch_execz .LBB4_851
; %bb.844:
	v_mov_b32_e32 v10, 0
	global_load_dwordx2 v[14:15], v10, s[24:25] offset:32 sc0 sc1
	global_load_dwordx2 v[2:3], v10, s[24:25] offset:40
	v_mov_b32_e32 v12, s12
	v_mov_b32_e32 v13, s13
	s_waitcnt vmcnt(0)
	v_readfirstlane_b32 s16, v2
	v_readfirstlane_b32 s17, v3
	s_and_b64 s[16:17], s[16:17], s[12:13]
	s_mul_i32 s7, s17, 24
	s_mul_hi_u32 s17, s16, 24
	s_mul_i32 s16, s16, 24
	s_add_i32 s17, s17, s7
	v_lshl_add_u64 v[8:9], v[0:1], 0, s[16:17]
	global_store_dwordx2 v[8:9], v[14:15], off
	buffer_wbl2 sc0 sc1
	s_waitcnt vmcnt(0)
	global_atomic_cmpswap_x2 v[2:3], v10, v[12:15], s[24:25] offset:32 sc0 sc1
	s_waitcnt vmcnt(0)
	v_cmp_ne_u64_e32 vcc, v[2:3], v[14:15]
	s_and_saveexec_b64 s[16:17], vcc
	s_cbranch_execz .LBB4_847
; %bb.845:
	s_mov_b64 s[18:19], 0
.LBB4_846:                              ; =>This Inner Loop Header: Depth=1
	s_sleep 1
	global_store_dwordx2 v[8:9], v[2:3], off
	v_mov_b32_e32 v0, s12
	v_mov_b32_e32 v1, s13
	buffer_wbl2 sc0 sc1
	s_waitcnt vmcnt(0)
	global_atomic_cmpswap_x2 v[0:1], v10, v[0:3], s[24:25] offset:32 sc0 sc1
	s_waitcnt vmcnt(0)
	v_cmp_eq_u64_e32 vcc, v[0:1], v[2:3]
	s_or_b64 s[18:19], vcc, s[18:19]
	v_mov_b64_e32 v[2:3], v[0:1]
	s_andn2_b64 exec, exec, s[18:19]
	s_cbranch_execnz .LBB4_846
.LBB4_847:
	s_or_b64 exec, exec, s[16:17]
	v_mov_b32_e32 v3, 0
	global_load_dwordx2 v[0:1], v3, s[24:25] offset:16
	s_mov_b64 s[16:17], exec
	v_mbcnt_lo_u32_b32 v2, s16, 0
	v_mbcnt_hi_u32_b32 v2, s17, v2
	v_cmp_eq_u32_e32 vcc, 0, v2
	s_and_saveexec_b64 s[18:19], vcc
	s_cbranch_execz .LBB4_849
; %bb.848:
	s_bcnt1_i32_b64 s7, s[16:17]
	v_mov_b32_e32 v2, s7
	buffer_wbl2 sc0 sc1
	s_waitcnt vmcnt(0)
	global_atomic_add_x2 v[0:1], v[2:3], off offset:8 sc1
.LBB4_849:
	s_or_b64 exec, exec, s[18:19]
	s_waitcnt vmcnt(0)
	global_load_dwordx2 v[2:3], v[0:1], off offset:16
	s_waitcnt vmcnt(0)
	v_cmp_eq_u64_e32 vcc, 0, v[2:3]
	s_cbranch_vccnz .LBB4_851
; %bb.850:
	global_load_dword v0, v[0:1], off offset:24
	v_mov_b32_e32 v1, 0
	buffer_wbl2 sc0 sc1
	s_waitcnt vmcnt(0)
	global_store_dwordx2 v[2:3], v[0:1], off sc0 sc1
	v_and_b32_e32 v0, 0xffffff, v0
	s_nop 0
	v_readfirstlane_b32 m0, v0
	s_sendmsg sendmsg(MSG_INTERRUPT)
.LBB4_851:
	s_or_b64 exec, exec, s[14:15]
	v_lshl_add_u64 v[0:1], v[6:7], 0, v[38:39]
	s_branch .LBB4_855
.LBB4_852:                              ;   in Loop: Header=BB4_855 Depth=1
	s_or_b64 exec, exec, s[14:15]
	v_readfirstlane_b32 s7, v2
	s_cmp_eq_u32 s7, 0
	s_cbranch_scc1 .LBB4_854
; %bb.853:                              ;   in Loop: Header=BB4_855 Depth=1
	s_sleep 1
	s_cbranch_execnz .LBB4_855
	s_branch .LBB4_857
.LBB4_854:
	s_branch .LBB4_857
.LBB4_855:                              ; =>This Inner Loop Header: Depth=1
	v_mov_b32_e32 v2, 1
	s_and_saveexec_b64 s[14:15], s[0:1]
	s_cbranch_execz .LBB4_852
; %bb.856:                              ;   in Loop: Header=BB4_855 Depth=1
	global_load_dword v2, v[4:5], off offset:20 sc0 sc1
	s_waitcnt vmcnt(0)
	buffer_inv sc0 sc1
	v_and_b32_e32 v2, 1, v2
	s_branch .LBB4_852
.LBB4_857:
	global_load_dwordx2 v[0:1], v[0:1], off
	s_and_saveexec_b64 s[14:15], s[0:1]
	s_cbranch_execz .LBB4_860
; %bb.858:
	v_mov_b32_e32 v8, 0
	global_load_dwordx2 v[6:7], v8, s[24:25] offset:40
	global_load_dwordx2 v[10:11], v8, s[24:25] offset:24 sc0 sc1
	global_load_dwordx2 v[12:13], v8, s[24:25]
	s_mov_b64 s[0:1], 0
	s_waitcnt vmcnt(2)
	v_lshl_add_u64 v[2:3], v[6:7], 0, 1
	v_lshl_add_u64 v[14:15], v[2:3], 0, s[12:13]
	v_cmp_eq_u64_e32 vcc, 0, v[14:15]
	s_waitcnt vmcnt(1)
	v_mov_b32_e32 v4, v10
	v_cndmask_b32_e32 v3, v15, v3, vcc
	v_cndmask_b32_e32 v2, v14, v2, vcc
	v_and_b32_e32 v5, v3, v7
	v_and_b32_e32 v6, v2, v6
	v_mul_lo_u32 v5, v5, 24
	v_mul_hi_u32 v7, v6, 24
	v_mul_lo_u32 v6, v6, 24
	v_add_u32_e32 v7, v7, v5
	s_waitcnt vmcnt(0)
	v_lshl_add_u64 v[6:7], v[12:13], 0, v[6:7]
	global_store_dwordx2 v[6:7], v[10:11], off
	v_mov_b32_e32 v5, v11
	buffer_wbl2 sc0 sc1
	s_waitcnt vmcnt(0)
	global_atomic_cmpswap_x2 v[4:5], v8, v[2:5], s[24:25] offset:24 sc0 sc1
	s_waitcnt vmcnt(0)
	v_cmp_ne_u64_e32 vcc, v[4:5], v[10:11]
	s_and_b64 exec, exec, vcc
	s_cbranch_execz .LBB4_860
.LBB4_859:                              ; =>This Inner Loop Header: Depth=1
	s_sleep 1
	global_store_dwordx2 v[6:7], v[4:5], off
	buffer_wbl2 sc0 sc1
	s_waitcnt vmcnt(0)
	global_atomic_cmpswap_x2 v[10:11], v8, v[2:5], s[24:25] offset:24 sc0 sc1
	s_waitcnt vmcnt(0)
	v_cmp_eq_u64_e32 vcc, v[10:11], v[4:5]
	s_or_b64 s[0:1], vcc, s[0:1]
	v_mov_b64_e32 v[4:5], v[10:11]
	s_andn2_b64 exec, exec, s[0:1]
	s_cbranch_execnz .LBB4_859
.LBB4_860:
	s_or_b64 exec, exec, s[14:15]
	s_getpc_b64 s[12:13]
	s_add_u32 s12, s12, .str.7@rel32@lo+4
	s_addc_u32 s13, s13, .str.7@rel32@hi+12
	s_cmp_lg_u64 s[12:13], 0
	s_cbranch_scc0 .LBB4_945
; %bb.861:
	s_waitcnt vmcnt(0)
	v_and_b32_e32 v28, 2, v0
	v_mov_b32_e32 v31, 0
	v_and_b32_e32 v2, -3, v0
	v_mov_b32_e32 v3, v1
	s_mov_b64 s[14:15], 4
	v_mov_b32_e32 v6, 2
	v_mov_b32_e32 v7, 1
	s_branch .LBB4_863
.LBB4_862:                              ;   in Loop: Header=BB4_863 Depth=1
	s_or_b64 exec, exec, s[20:21]
	s_sub_u32 s14, s14, s16
	s_subb_u32 s15, s15, s17
	s_add_u32 s12, s12, s16
	s_addc_u32 s13, s13, s17
	s_cmp_lg_u64 s[14:15], 0
	s_cbranch_scc0 .LBB4_944
.LBB4_863:                              ; =>This Loop Header: Depth=1
                                        ;     Child Loop BB4_866 Depth 2
                                        ;     Child Loop BB4_873 Depth 2
	;; [unrolled: 1-line block ×11, first 2 shown]
	v_cmp_lt_u64_e64 s[0:1], s[14:15], 56
	s_and_b64 s[0:1], s[0:1], exec
	v_cmp_gt_u64_e64 s[0:1], s[14:15], 7
	s_cselect_b32 s17, s15, 0
	s_cselect_b32 s16, s14, 56
	s_and_b64 vcc, exec, s[0:1]
	s_cbranch_vccnz .LBB4_868
; %bb.864:                              ;   in Loop: Header=BB4_863 Depth=1
	s_mov_b64 s[0:1], 0
	s_cmp_eq_u64 s[14:15], 0
	v_mov_b64_e32 v[10:11], 0
	s_cbranch_scc1 .LBB4_867
; %bb.865:                              ;   in Loop: Header=BB4_863 Depth=1
	s_lshl_b64 s[18:19], s[16:17], 3
	s_mov_b64 s[20:21], 0
	v_mov_b64_e32 v[10:11], 0
	s_mov_b64 s[28:29], s[12:13]
.LBB4_866:                              ;   Parent Loop BB4_863 Depth=1
                                        ; =>  This Inner Loop Header: Depth=2
	global_load_ubyte v4, v31, s[28:29]
	s_waitcnt vmcnt(0)
	v_and_b32_e32 v30, 0xffff, v4
	v_lshlrev_b64 v[4:5], s20, v[30:31]
	s_add_u32 s20, s20, 8
	s_addc_u32 s21, s21, 0
	s_add_u32 s28, s28, 1
	s_addc_u32 s29, s29, 0
	v_or_b32_e32 v10, v4, v10
	s_cmp_lg_u32 s18, s20
	v_or_b32_e32 v11, v5, v11
	s_cbranch_scc1 .LBB4_866
.LBB4_867:                              ;   in Loop: Header=BB4_863 Depth=1
	s_mov_b32 s7, 0
	s_andn2_b64 vcc, exec, s[0:1]
	s_mov_b64 s[0:1], s[12:13]
	s_cbranch_vccz .LBB4_869
	s_branch .LBB4_870
.LBB4_868:                              ;   in Loop: Header=BB4_863 Depth=1
                                        ; implicit-def: $vgpr10_vgpr11
                                        ; implicit-def: $sgpr7
	s_mov_b64 s[0:1], s[12:13]
.LBB4_869:                              ;   in Loop: Header=BB4_863 Depth=1
	global_load_dwordx2 v[10:11], v31, s[12:13]
	s_add_i32 s7, s16, -8
	s_add_u32 s0, s12, 8
	s_addc_u32 s1, s13, 0
.LBB4_870:                              ;   in Loop: Header=BB4_863 Depth=1
	s_cmp_gt_u32 s7, 7
	s_cbranch_scc1 .LBB4_874
; %bb.871:                              ;   in Loop: Header=BB4_863 Depth=1
	s_cmp_eq_u32 s7, 0
	s_cbranch_scc1 .LBB4_875
; %bb.872:                              ;   in Loop: Header=BB4_863 Depth=1
	s_mov_b64 s[18:19], 0
	v_mov_b64_e32 v[12:13], 0
	s_mov_b64 s[20:21], 0
.LBB4_873:                              ;   Parent Loop BB4_863 Depth=1
                                        ; =>  This Inner Loop Header: Depth=2
	s_add_u32 s28, s0, s20
	s_addc_u32 s29, s1, s21
	global_load_ubyte v4, v31, s[28:29]
	s_add_u32 s20, s20, 1
	s_addc_u32 s21, s21, 0
	s_waitcnt vmcnt(0)
	v_and_b32_e32 v30, 0xffff, v4
	v_lshlrev_b64 v[4:5], s18, v[30:31]
	s_add_u32 s18, s18, 8
	s_addc_u32 s19, s19, 0
	v_or_b32_e32 v12, v4, v12
	s_cmp_lg_u32 s7, s20
	v_or_b32_e32 v13, v5, v13
	s_cbranch_scc1 .LBB4_873
	s_branch .LBB4_876
.LBB4_874:                              ;   in Loop: Header=BB4_863 Depth=1
                                        ; implicit-def: $vgpr12_vgpr13
                                        ; implicit-def: $sgpr28
	s_branch .LBB4_877
.LBB4_875:                              ;   in Loop: Header=BB4_863 Depth=1
	v_mov_b64_e32 v[12:13], 0
.LBB4_876:                              ;   in Loop: Header=BB4_863 Depth=1
	s_mov_b32 s28, 0
	s_cbranch_execnz .LBB4_878
.LBB4_877:                              ;   in Loop: Header=BB4_863 Depth=1
	global_load_dwordx2 v[12:13], v31, s[0:1]
	s_add_i32 s28, s7, -8
	s_add_u32 s0, s0, 8
	s_addc_u32 s1, s1, 0
.LBB4_878:                              ;   in Loop: Header=BB4_863 Depth=1
	s_cmp_gt_u32 s28, 7
	s_cbranch_scc1 .LBB4_882
; %bb.879:                              ;   in Loop: Header=BB4_863 Depth=1
	s_cmp_eq_u32 s28, 0
	s_cbranch_scc1 .LBB4_883
; %bb.880:                              ;   in Loop: Header=BB4_863 Depth=1
	s_mov_b64 s[18:19], 0
	v_mov_b64_e32 v[14:15], 0
	s_mov_b64 s[20:21], 0
.LBB4_881:                              ;   Parent Loop BB4_863 Depth=1
                                        ; =>  This Inner Loop Header: Depth=2
	s_add_u32 s30, s0, s20
	s_addc_u32 s31, s1, s21
	global_load_ubyte v4, v31, s[30:31]
	s_add_u32 s20, s20, 1
	s_addc_u32 s21, s21, 0
	s_waitcnt vmcnt(0)
	v_and_b32_e32 v30, 0xffff, v4
	v_lshlrev_b64 v[4:5], s18, v[30:31]
	s_add_u32 s18, s18, 8
	s_addc_u32 s19, s19, 0
	v_or_b32_e32 v14, v4, v14
	s_cmp_lg_u32 s28, s20
	v_or_b32_e32 v15, v5, v15
	s_cbranch_scc1 .LBB4_881
	s_branch .LBB4_884
.LBB4_882:                              ;   in Loop: Header=BB4_863 Depth=1
                                        ; implicit-def: $sgpr7
	s_branch .LBB4_885
.LBB4_883:                              ;   in Loop: Header=BB4_863 Depth=1
	v_mov_b64_e32 v[14:15], 0
.LBB4_884:                              ;   in Loop: Header=BB4_863 Depth=1
	s_mov_b32 s7, 0
	s_cbranch_execnz .LBB4_886
.LBB4_885:                              ;   in Loop: Header=BB4_863 Depth=1
	global_load_dwordx2 v[14:15], v31, s[0:1]
	s_add_i32 s7, s28, -8
	s_add_u32 s0, s0, 8
	s_addc_u32 s1, s1, 0
.LBB4_886:                              ;   in Loop: Header=BB4_863 Depth=1
	s_cmp_gt_u32 s7, 7
	s_cbranch_scc1 .LBB4_890
; %bb.887:                              ;   in Loop: Header=BB4_863 Depth=1
	s_cmp_eq_u32 s7, 0
	s_cbranch_scc1 .LBB4_891
; %bb.888:                              ;   in Loop: Header=BB4_863 Depth=1
	s_mov_b64 s[18:19], 0
	v_mov_b64_e32 v[16:17], 0
	s_mov_b64 s[20:21], 0
.LBB4_889:                              ;   Parent Loop BB4_863 Depth=1
                                        ; =>  This Inner Loop Header: Depth=2
	s_add_u32 s28, s0, s20
	s_addc_u32 s29, s1, s21
	global_load_ubyte v4, v31, s[28:29]
	s_add_u32 s20, s20, 1
	s_addc_u32 s21, s21, 0
	s_waitcnt vmcnt(0)
	v_and_b32_e32 v30, 0xffff, v4
	v_lshlrev_b64 v[4:5], s18, v[30:31]
	s_add_u32 s18, s18, 8
	s_addc_u32 s19, s19, 0
	v_or_b32_e32 v16, v4, v16
	s_cmp_lg_u32 s7, s20
	v_or_b32_e32 v17, v5, v17
	s_cbranch_scc1 .LBB4_889
	s_branch .LBB4_892
.LBB4_890:                              ;   in Loop: Header=BB4_863 Depth=1
                                        ; implicit-def: $vgpr16_vgpr17
                                        ; implicit-def: $sgpr28
	s_branch .LBB4_893
.LBB4_891:                              ;   in Loop: Header=BB4_863 Depth=1
	v_mov_b64_e32 v[16:17], 0
.LBB4_892:                              ;   in Loop: Header=BB4_863 Depth=1
	s_mov_b32 s28, 0
	s_cbranch_execnz .LBB4_894
.LBB4_893:                              ;   in Loop: Header=BB4_863 Depth=1
	global_load_dwordx2 v[16:17], v31, s[0:1]
	s_add_i32 s28, s7, -8
	s_add_u32 s0, s0, 8
	s_addc_u32 s1, s1, 0
.LBB4_894:                              ;   in Loop: Header=BB4_863 Depth=1
	s_cmp_gt_u32 s28, 7
	s_cbranch_scc1 .LBB4_898
; %bb.895:                              ;   in Loop: Header=BB4_863 Depth=1
	s_cmp_eq_u32 s28, 0
	s_cbranch_scc1 .LBB4_899
; %bb.896:                              ;   in Loop: Header=BB4_863 Depth=1
	s_mov_b64 s[18:19], 0
	v_mov_b64_e32 v[18:19], 0
	s_mov_b64 s[20:21], 0
.LBB4_897:                              ;   Parent Loop BB4_863 Depth=1
                                        ; =>  This Inner Loop Header: Depth=2
	s_add_u32 s30, s0, s20
	s_addc_u32 s31, s1, s21
	global_load_ubyte v4, v31, s[30:31]
	s_add_u32 s20, s20, 1
	s_addc_u32 s21, s21, 0
	s_waitcnt vmcnt(0)
	v_and_b32_e32 v30, 0xffff, v4
	v_lshlrev_b64 v[4:5], s18, v[30:31]
	s_add_u32 s18, s18, 8
	s_addc_u32 s19, s19, 0
	v_or_b32_e32 v18, v4, v18
	s_cmp_lg_u32 s28, s20
	v_or_b32_e32 v19, v5, v19
	s_cbranch_scc1 .LBB4_897
	s_branch .LBB4_900
.LBB4_898:                              ;   in Loop: Header=BB4_863 Depth=1
                                        ; implicit-def: $sgpr7
	s_branch .LBB4_901
.LBB4_899:                              ;   in Loop: Header=BB4_863 Depth=1
	v_mov_b64_e32 v[18:19], 0
.LBB4_900:                              ;   in Loop: Header=BB4_863 Depth=1
	s_mov_b32 s7, 0
	s_cbranch_execnz .LBB4_902
.LBB4_901:                              ;   in Loop: Header=BB4_863 Depth=1
	global_load_dwordx2 v[18:19], v31, s[0:1]
	s_add_i32 s7, s28, -8
	s_add_u32 s0, s0, 8
	s_addc_u32 s1, s1, 0
.LBB4_902:                              ;   in Loop: Header=BB4_863 Depth=1
	s_cmp_gt_u32 s7, 7
	s_cbranch_scc1 .LBB4_906
; %bb.903:                              ;   in Loop: Header=BB4_863 Depth=1
	s_cmp_eq_u32 s7, 0
	s_cbranch_scc1 .LBB4_907
; %bb.904:                              ;   in Loop: Header=BB4_863 Depth=1
	s_mov_b64 s[18:19], 0
	v_mov_b64_e32 v[20:21], 0
	s_mov_b64 s[20:21], 0
.LBB4_905:                              ;   Parent Loop BB4_863 Depth=1
                                        ; =>  This Inner Loop Header: Depth=2
	s_add_u32 s28, s0, s20
	s_addc_u32 s29, s1, s21
	global_load_ubyte v4, v31, s[28:29]
	s_add_u32 s20, s20, 1
	s_addc_u32 s21, s21, 0
	s_waitcnt vmcnt(0)
	v_and_b32_e32 v30, 0xffff, v4
	v_lshlrev_b64 v[4:5], s18, v[30:31]
	s_add_u32 s18, s18, 8
	s_addc_u32 s19, s19, 0
	v_or_b32_e32 v20, v4, v20
	s_cmp_lg_u32 s7, s20
	v_or_b32_e32 v21, v5, v21
	s_cbranch_scc1 .LBB4_905
	s_branch .LBB4_908
.LBB4_906:                              ;   in Loop: Header=BB4_863 Depth=1
                                        ; implicit-def: $vgpr20_vgpr21
                                        ; implicit-def: $sgpr28
	s_branch .LBB4_909
.LBB4_907:                              ;   in Loop: Header=BB4_863 Depth=1
	v_mov_b64_e32 v[20:21], 0
.LBB4_908:                              ;   in Loop: Header=BB4_863 Depth=1
	s_mov_b32 s28, 0
	s_cbranch_execnz .LBB4_910
.LBB4_909:                              ;   in Loop: Header=BB4_863 Depth=1
	global_load_dwordx2 v[20:21], v31, s[0:1]
	s_add_i32 s28, s7, -8
	s_add_u32 s0, s0, 8
	s_addc_u32 s1, s1, 0
.LBB4_910:                              ;   in Loop: Header=BB4_863 Depth=1
	s_cmp_gt_u32 s28, 7
	s_cbranch_scc1 .LBB4_914
; %bb.911:                              ;   in Loop: Header=BB4_863 Depth=1
	s_cmp_eq_u32 s28, 0
	s_cbranch_scc1 .LBB4_915
; %bb.912:                              ;   in Loop: Header=BB4_863 Depth=1
	s_mov_b64 s[18:19], 0
	v_mov_b64_e32 v[22:23], 0
	s_mov_b64 s[20:21], s[0:1]
.LBB4_913:                              ;   Parent Loop BB4_863 Depth=1
                                        ; =>  This Inner Loop Header: Depth=2
	global_load_ubyte v4, v31, s[20:21]
	s_add_i32 s28, s28, -1
	s_waitcnt vmcnt(0)
	v_and_b32_e32 v30, 0xffff, v4
	v_lshlrev_b64 v[4:5], s18, v[30:31]
	s_add_u32 s18, s18, 8
	s_addc_u32 s19, s19, 0
	s_add_u32 s20, s20, 1
	s_addc_u32 s21, s21, 0
	v_or_b32_e32 v22, v4, v22
	s_cmp_lg_u32 s28, 0
	v_or_b32_e32 v23, v5, v23
	s_cbranch_scc1 .LBB4_913
	s_branch .LBB4_916
.LBB4_914:                              ;   in Loop: Header=BB4_863 Depth=1
	s_branch .LBB4_917
.LBB4_915:                              ;   in Loop: Header=BB4_863 Depth=1
	v_mov_b64_e32 v[22:23], 0
.LBB4_916:                              ;   in Loop: Header=BB4_863 Depth=1
	s_cbranch_execnz .LBB4_918
.LBB4_917:                              ;   in Loop: Header=BB4_863 Depth=1
	global_load_dwordx2 v[22:23], v31, s[0:1]
.LBB4_918:                              ;   in Loop: Header=BB4_863 Depth=1
	v_readfirstlane_b32 s0, v37
	s_waitcnt vmcnt(0)
	v_mov_b64_e32 v[4:5], 0
	v_cmp_eq_u32_e64 s[0:1], s0, v37
	s_and_saveexec_b64 s[18:19], s[0:1]
	s_cbranch_execz .LBB4_924
; %bb.919:                              ;   in Loop: Header=BB4_863 Depth=1
	global_load_dwordx2 v[26:27], v31, s[24:25] offset:24 sc0 sc1
	s_waitcnt vmcnt(0)
	buffer_inv sc0 sc1
	global_load_dwordx2 v[4:5], v31, s[24:25] offset:40
	global_load_dwordx2 v[8:9], v31, s[24:25]
	s_waitcnt vmcnt(1)
	v_and_b32_e32 v4, v4, v26
	v_and_b32_e32 v5, v5, v27
	v_mul_lo_u32 v5, v5, 24
	v_mul_hi_u32 v24, v4, 24
	v_add_u32_e32 v5, v24, v5
	v_mul_lo_u32 v4, v4, 24
	s_waitcnt vmcnt(0)
	v_lshl_add_u64 v[4:5], v[8:9], 0, v[4:5]
	global_load_dwordx2 v[24:25], v[4:5], off sc0 sc1
	s_waitcnt vmcnt(0)
	global_atomic_cmpswap_x2 v[4:5], v31, v[24:27], s[24:25] offset:24 sc0 sc1
	s_waitcnt vmcnt(0)
	buffer_inv sc0 sc1
	v_cmp_ne_u64_e32 vcc, v[4:5], v[26:27]
	s_and_saveexec_b64 s[20:21], vcc
	s_cbranch_execz .LBB4_923
; %bb.920:                              ;   in Loop: Header=BB4_863 Depth=1
	s_mov_b64 s[28:29], 0
.LBB4_921:                              ;   Parent Loop BB4_863 Depth=1
                                        ; =>  This Inner Loop Header: Depth=2
	s_sleep 1
	global_load_dwordx2 v[8:9], v31, s[24:25] offset:40
	global_load_dwordx2 v[24:25], v31, s[24:25]
	v_mov_b64_e32 v[26:27], v[4:5]
	s_waitcnt vmcnt(1)
	v_and_b32_e32 v4, v8, v26
	s_waitcnt vmcnt(0)
	v_mad_u64_u32 v[4:5], s[30:31], v4, 24, v[24:25]
	v_and_b32_e32 v9, v9, v27
	v_mov_b32_e32 v8, v5
	v_mad_u64_u32 v[8:9], s[30:31], v9, 24, v[8:9]
	v_mov_b32_e32 v5, v8
	global_load_dwordx2 v[24:25], v[4:5], off sc0 sc1
	s_waitcnt vmcnt(0)
	global_atomic_cmpswap_x2 v[4:5], v31, v[24:27], s[24:25] offset:24 sc0 sc1
	s_waitcnt vmcnt(0)
	buffer_inv sc0 sc1
	v_cmp_eq_u64_e32 vcc, v[4:5], v[26:27]
	s_or_b64 s[28:29], vcc, s[28:29]
	s_andn2_b64 exec, exec, s[28:29]
	s_cbranch_execnz .LBB4_921
; %bb.922:                              ;   in Loop: Header=BB4_863 Depth=1
	s_or_b64 exec, exec, s[28:29]
.LBB4_923:                              ;   in Loop: Header=BB4_863 Depth=1
	s_or_b64 exec, exec, s[20:21]
.LBB4_924:                              ;   in Loop: Header=BB4_863 Depth=1
	s_or_b64 exec, exec, s[18:19]
	global_load_dwordx2 v[8:9], v31, s[24:25] offset:40
	global_load_dwordx4 v[24:27], v31, s[24:25]
	v_readfirstlane_b32 s18, v4
	v_readfirstlane_b32 s19, v5
	s_mov_b64 s[20:21], exec
	s_waitcnt vmcnt(1)
	v_readfirstlane_b32 s28, v8
	v_readfirstlane_b32 s29, v9
	s_and_b64 s[28:29], s[18:19], s[28:29]
	s_mul_i32 s7, s29, 24
	s_mul_hi_u32 s30, s28, 24
	s_add_i32 s31, s30, s7
	s_mul_i32 s30, s28, 24
	s_waitcnt vmcnt(0)
	v_lshl_add_u64 v[32:33], v[24:25], 0, s[30:31]
	s_and_saveexec_b64 s[30:31], s[0:1]
	s_cbranch_execz .LBB4_926
; %bb.925:                              ;   in Loop: Header=BB4_863 Depth=1
	v_mov_b64_e32 v[4:5], s[20:21]
	global_store_dwordx4 v[32:33], v[4:7], off offset:8
.LBB4_926:                              ;   in Loop: Header=BB4_863 Depth=1
	s_or_b64 exec, exec, s[30:31]
	s_nop 0
	v_or_b32_e32 v5, v2, v28
	v_cmp_gt_u64_e64 vcc, s[14:15], 56
	s_lshl_b32 s7, s16, 2
	s_lshl_b64 s[20:21], s[28:29], 12
	v_cndmask_b32_e32 v2, v5, v2, vcc
	s_add_i32 s7, s7, 28
	v_lshl_add_u64 v[26:27], v[26:27], 0, s[20:21]
	v_or_b32_e32 v4, 0, v3
	s_and_b32 s7, s7, 0x1e0
	v_and_b32_e32 v2, 0xffffff1f, v2
	v_cndmask_b32_e32 v9, v4, v3, vcc
	v_or_b32_e32 v8, s7, v2
	v_readfirstlane_b32 s20, v26
	v_readfirstlane_b32 s21, v27
	s_nop 4
	global_store_dwordx4 v38, v[8:11], s[20:21]
	global_store_dwordx4 v38, v[12:15], s[20:21] offset:16
	global_store_dwordx4 v38, v[16:19], s[20:21] offset:32
	;; [unrolled: 1-line block ×3, first 2 shown]
	s_and_saveexec_b64 s[20:21], s[0:1]
	s_cbranch_execz .LBB4_934
; %bb.927:                              ;   in Loop: Header=BB4_863 Depth=1
	global_load_dwordx2 v[12:13], v31, s[24:25] offset:32 sc0 sc1
	global_load_dwordx2 v[2:3], v31, s[24:25] offset:40
	v_mov_b32_e32 v10, s18
	v_mov_b32_e32 v11, s19
	s_waitcnt vmcnt(0)
	v_readfirstlane_b32 s28, v2
	v_readfirstlane_b32 s29, v3
	s_and_b64 s[28:29], s[28:29], s[18:19]
	s_mul_i32 s7, s29, 24
	s_mul_hi_u32 s29, s28, 24
	s_mul_i32 s28, s28, 24
	s_add_i32 s29, s29, s7
	v_lshl_add_u64 v[8:9], v[24:25], 0, s[28:29]
	global_store_dwordx2 v[8:9], v[12:13], off
	buffer_wbl2 sc0 sc1
	s_waitcnt vmcnt(0)
	global_atomic_cmpswap_x2 v[4:5], v31, v[10:13], s[24:25] offset:32 sc0 sc1
	s_waitcnt vmcnt(0)
	v_cmp_ne_u64_e32 vcc, v[4:5], v[12:13]
	s_and_saveexec_b64 s[28:29], vcc
	s_cbranch_execz .LBB4_930
; %bb.928:                              ;   in Loop: Header=BB4_863 Depth=1
	s_mov_b64 s[30:31], 0
.LBB4_929:                              ;   Parent Loop BB4_863 Depth=1
                                        ; =>  This Inner Loop Header: Depth=2
	s_sleep 1
	global_store_dwordx2 v[8:9], v[4:5], off
	v_mov_b32_e32 v2, s18
	v_mov_b32_e32 v3, s19
	buffer_wbl2 sc0 sc1
	s_waitcnt vmcnt(0)
	global_atomic_cmpswap_x2 v[2:3], v31, v[2:5], s[24:25] offset:32 sc0 sc1
	s_waitcnt vmcnt(0)
	v_cmp_eq_u64_e32 vcc, v[2:3], v[4:5]
	s_or_b64 s[30:31], vcc, s[30:31]
	v_mov_b64_e32 v[4:5], v[2:3]
	s_andn2_b64 exec, exec, s[30:31]
	s_cbranch_execnz .LBB4_929
.LBB4_930:                              ;   in Loop: Header=BB4_863 Depth=1
	s_or_b64 exec, exec, s[28:29]
	global_load_dwordx2 v[2:3], v31, s[24:25] offset:16
	s_mov_b64 s[30:31], exec
	v_mbcnt_lo_u32_b32 v4, s30, 0
	v_mbcnt_hi_u32_b32 v4, s31, v4
	v_cmp_eq_u32_e32 vcc, 0, v4
	s_and_saveexec_b64 s[28:29], vcc
	s_cbranch_execz .LBB4_932
; %bb.931:                              ;   in Loop: Header=BB4_863 Depth=1
	s_bcnt1_i32_b64 s7, s[30:31]
	v_mov_b32_e32 v30, s7
	buffer_wbl2 sc0 sc1
	s_waitcnt vmcnt(0)
	global_atomic_add_x2 v[2:3], v[30:31], off offset:8 sc1
.LBB4_932:                              ;   in Loop: Header=BB4_863 Depth=1
	s_or_b64 exec, exec, s[28:29]
	s_waitcnt vmcnt(0)
	global_load_dwordx2 v[4:5], v[2:3], off offset:16
	s_waitcnt vmcnt(0)
	v_cmp_eq_u64_e32 vcc, 0, v[4:5]
	s_cbranch_vccnz .LBB4_934
; %bb.933:                              ;   in Loop: Header=BB4_863 Depth=1
	global_load_dword v30, v[2:3], off offset:24
	s_waitcnt vmcnt(0)
	v_and_b32_e32 v2, 0xffffff, v30
	s_nop 0
	v_readfirstlane_b32 m0, v2
	buffer_wbl2 sc0 sc1
	global_store_dwordx2 v[4:5], v[30:31], off sc0 sc1
	s_sendmsg sendmsg(MSG_INTERRUPT)
.LBB4_934:                              ;   in Loop: Header=BB4_863 Depth=1
	s_or_b64 exec, exec, s[20:21]
	v_mov_b32_e32 v39, v31
	v_lshl_add_u64 v[2:3], v[26:27], 0, v[38:39]
	s_branch .LBB4_938
.LBB4_935:                              ;   in Loop: Header=BB4_938 Depth=2
	s_or_b64 exec, exec, s[20:21]
	v_readfirstlane_b32 s7, v4
	s_cmp_eq_u32 s7, 0
	s_cbranch_scc1 .LBB4_937
; %bb.936:                              ;   in Loop: Header=BB4_938 Depth=2
	s_sleep 1
	s_cbranch_execnz .LBB4_938
	s_branch .LBB4_940
.LBB4_937:                              ;   in Loop: Header=BB4_863 Depth=1
	s_branch .LBB4_940
.LBB4_938:                              ;   Parent Loop BB4_863 Depth=1
                                        ; =>  This Inner Loop Header: Depth=2
	v_mov_b32_e32 v4, 1
	s_and_saveexec_b64 s[20:21], s[0:1]
	s_cbranch_execz .LBB4_935
; %bb.939:                              ;   in Loop: Header=BB4_938 Depth=2
	global_load_dword v4, v[32:33], off offset:20 sc0 sc1
	s_waitcnt vmcnt(0)
	buffer_inv sc0 sc1
	v_and_b32_e32 v4, 1, v4
	s_branch .LBB4_935
.LBB4_940:                              ;   in Loop: Header=BB4_863 Depth=1
	global_load_dwordx4 v[2:5], v[2:3], off
	s_and_saveexec_b64 s[20:21], s[0:1]
	s_cbranch_execz .LBB4_862
; %bb.941:                              ;   in Loop: Header=BB4_863 Depth=1
	global_load_dwordx2 v[4:5], v31, s[24:25] offset:40
	global_load_dwordx2 v[12:13], v31, s[24:25] offset:24 sc0 sc1
	global_load_dwordx2 v[14:15], v31, s[24:25]
	s_waitcnt vmcnt(2)
	v_lshl_add_u64 v[8:9], v[4:5], 0, 1
	v_lshl_add_u64 v[16:17], v[8:9], 0, s[18:19]
	v_cmp_eq_u64_e32 vcc, 0, v[16:17]
	s_waitcnt vmcnt(1)
	v_mov_b32_e32 v10, v12
	v_cndmask_b32_e32 v9, v17, v9, vcc
	v_cndmask_b32_e32 v8, v16, v8, vcc
	v_and_b32_e32 v5, v9, v5
	v_and_b32_e32 v4, v8, v4
	v_mul_lo_u32 v5, v5, 24
	v_mul_hi_u32 v11, v4, 24
	v_mul_lo_u32 v4, v4, 24
	v_add_u32_e32 v5, v11, v5
	s_waitcnt vmcnt(0)
	v_lshl_add_u64 v[4:5], v[14:15], 0, v[4:5]
	global_store_dwordx2 v[4:5], v[12:13], off
	v_mov_b32_e32 v11, v13
	buffer_wbl2 sc0 sc1
	s_waitcnt vmcnt(0)
	global_atomic_cmpswap_x2 v[10:11], v31, v[8:11], s[24:25] offset:24 sc0 sc1
	s_waitcnt vmcnt(0)
	v_cmp_ne_u64_e32 vcc, v[10:11], v[12:13]
	s_and_b64 exec, exec, vcc
	s_cbranch_execz .LBB4_862
; %bb.942:                              ;   in Loop: Header=BB4_863 Depth=1
	s_mov_b64 s[0:1], 0
.LBB4_943:                              ;   Parent Loop BB4_863 Depth=1
                                        ; =>  This Inner Loop Header: Depth=2
	s_sleep 1
	global_store_dwordx2 v[4:5], v[10:11], off
	buffer_wbl2 sc0 sc1
	s_waitcnt vmcnt(0)
	global_atomic_cmpswap_x2 v[12:13], v31, v[8:11], s[24:25] offset:24 sc0 sc1
	s_waitcnt vmcnt(0)
	v_cmp_eq_u64_e32 vcc, v[12:13], v[10:11]
	s_or_b64 s[0:1], vcc, s[0:1]
	v_mov_b64_e32 v[10:11], v[12:13]
	s_andn2_b64 exec, exec, s[0:1]
	s_cbranch_execnz .LBB4_943
	s_branch .LBB4_862
.LBB4_944:
	s_branch .LBB4_972
.LBB4_945:
                                        ; implicit-def: $vgpr2_vgpr3
	s_cbranch_execz .LBB4_972
; %bb.946:
	v_readfirstlane_b32 s0, v37
	s_waitcnt vmcnt(0)
	v_mov_b64_e32 v[2:3], 0
	v_cmp_eq_u32_e64 s[0:1], s0, v37
	s_and_saveexec_b64 s[12:13], s[0:1]
	s_cbranch_execz .LBB4_952
; %bb.947:
	v_mov_b32_e32 v4, 0
	global_load_dwordx2 v[8:9], v4, s[24:25] offset:24 sc0 sc1
	s_waitcnt vmcnt(0)
	buffer_inv sc0 sc1
	global_load_dwordx2 v[2:3], v4, s[24:25] offset:40
	global_load_dwordx2 v[6:7], v4, s[24:25]
	s_waitcnt vmcnt(1)
	v_and_b32_e32 v2, v2, v8
	v_and_b32_e32 v3, v3, v9
	v_mul_lo_u32 v3, v3, 24
	v_mul_hi_u32 v5, v2, 24
	v_add_u32_e32 v3, v5, v3
	v_mul_lo_u32 v2, v2, 24
	s_waitcnt vmcnt(0)
	v_lshl_add_u64 v[2:3], v[6:7], 0, v[2:3]
	global_load_dwordx2 v[6:7], v[2:3], off sc0 sc1
	s_waitcnt vmcnt(0)
	global_atomic_cmpswap_x2 v[2:3], v4, v[6:9], s[24:25] offset:24 sc0 sc1
	s_waitcnt vmcnt(0)
	buffer_inv sc0 sc1
	v_cmp_ne_u64_e32 vcc, v[2:3], v[8:9]
	s_and_saveexec_b64 s[14:15], vcc
	s_cbranch_execz .LBB4_951
; %bb.948:
	s_mov_b64 s[16:17], 0
.LBB4_949:                              ; =>This Inner Loop Header: Depth=1
	s_sleep 1
	global_load_dwordx2 v[6:7], v4, s[24:25] offset:40
	global_load_dwordx2 v[10:11], v4, s[24:25]
	v_mov_b64_e32 v[8:9], v[2:3]
	s_waitcnt vmcnt(1)
	v_and_b32_e32 v2, v6, v8
	s_waitcnt vmcnt(0)
	v_mad_u64_u32 v[2:3], s[18:19], v2, 24, v[10:11]
	v_and_b32_e32 v5, v7, v9
	v_mov_b32_e32 v6, v3
	v_mad_u64_u32 v[6:7], s[18:19], v5, 24, v[6:7]
	v_mov_b32_e32 v3, v6
	global_load_dwordx2 v[6:7], v[2:3], off sc0 sc1
	s_waitcnt vmcnt(0)
	global_atomic_cmpswap_x2 v[2:3], v4, v[6:9], s[24:25] offset:24 sc0 sc1
	s_waitcnt vmcnt(0)
	buffer_inv sc0 sc1
	v_cmp_eq_u64_e32 vcc, v[2:3], v[8:9]
	s_or_b64 s[16:17], vcc, s[16:17]
	s_andn2_b64 exec, exec, s[16:17]
	s_cbranch_execnz .LBB4_949
; %bb.950:
	s_or_b64 exec, exec, s[16:17]
.LBB4_951:
	s_or_b64 exec, exec, s[14:15]
.LBB4_952:
	s_or_b64 exec, exec, s[12:13]
	v_mov_b32_e32 v39, 0
	global_load_dwordx2 v[8:9], v39, s[24:25] offset:40
	global_load_dwordx4 v[4:7], v39, s[24:25]
	v_readfirstlane_b32 s12, v2
	v_readfirstlane_b32 s13, v3
	s_mov_b64 s[14:15], exec
	s_waitcnt vmcnt(1)
	v_readfirstlane_b32 s16, v8
	v_readfirstlane_b32 s17, v9
	s_and_b64 s[16:17], s[12:13], s[16:17]
	s_mul_i32 s7, s17, 24
	s_mul_hi_u32 s18, s16, 24
	s_add_i32 s19, s18, s7
	s_mul_i32 s18, s16, 24
	s_waitcnt vmcnt(0)
	v_lshl_add_u64 v[8:9], v[4:5], 0, s[18:19]
	s_and_saveexec_b64 s[18:19], s[0:1]
	s_cbranch_execz .LBB4_954
; %bb.953:
	v_mov_b64_e32 v[10:11], s[14:15]
	v_mov_b32_e32 v12, 2
	v_mov_b32_e32 v13, 1
	global_store_dwordx4 v[8:9], v[10:13], off offset:8
.LBB4_954:
	s_or_b64 exec, exec, s[18:19]
	s_lshl_b64 s[14:15], s[16:17], 12
	v_lshl_add_u64 v[6:7], v[6:7], 0, s[14:15]
	s_movk_i32 s7, 0xff1f
	s_mov_b32 s16, 0
	v_and_or_b32 v0, v0, s7, 32
	v_mov_b32_e32 v2, v39
	v_mov_b32_e32 v3, v39
	v_readfirstlane_b32 s14, v6
	v_readfirstlane_b32 s15, v7
	s_mov_b32 s17, s16
	s_mov_b32 s18, s16
	;; [unrolled: 1-line block ×3, first 2 shown]
	s_nop 1
	global_store_dwordx4 v38, v[0:3], s[14:15]
	s_nop 1
	v_mov_b64_e32 v[0:1], s[16:17]
	v_mov_b64_e32 v[2:3], s[18:19]
	global_store_dwordx4 v38, v[0:3], s[14:15] offset:16
	global_store_dwordx4 v38, v[0:3], s[14:15] offset:32
	;; [unrolled: 1-line block ×3, first 2 shown]
	s_and_saveexec_b64 s[14:15], s[0:1]
	s_cbranch_execz .LBB4_962
; %bb.955:
	v_mov_b32_e32 v10, 0
	global_load_dwordx2 v[14:15], v10, s[24:25] offset:32 sc0 sc1
	global_load_dwordx2 v[0:1], v10, s[24:25] offset:40
	v_mov_b32_e32 v12, s12
	v_mov_b32_e32 v13, s13
	s_waitcnt vmcnt(0)
	v_readfirstlane_b32 s16, v0
	v_readfirstlane_b32 s17, v1
	s_and_b64 s[16:17], s[16:17], s[12:13]
	s_mul_i32 s7, s17, 24
	s_mul_hi_u32 s17, s16, 24
	s_mul_i32 s16, s16, 24
	s_add_i32 s17, s17, s7
	v_lshl_add_u64 v[4:5], v[4:5], 0, s[16:17]
	global_store_dwordx2 v[4:5], v[14:15], off
	buffer_wbl2 sc0 sc1
	s_waitcnt vmcnt(0)
	global_atomic_cmpswap_x2 v[2:3], v10, v[12:15], s[24:25] offset:32 sc0 sc1
	s_waitcnt vmcnt(0)
	v_cmp_ne_u64_e32 vcc, v[2:3], v[14:15]
	s_and_saveexec_b64 s[16:17], vcc
	s_cbranch_execz .LBB4_958
; %bb.956:
	s_mov_b64 s[18:19], 0
.LBB4_957:                              ; =>This Inner Loop Header: Depth=1
	s_sleep 1
	global_store_dwordx2 v[4:5], v[2:3], off
	v_mov_b32_e32 v0, s12
	v_mov_b32_e32 v1, s13
	buffer_wbl2 sc0 sc1
	s_waitcnt vmcnt(0)
	global_atomic_cmpswap_x2 v[0:1], v10, v[0:3], s[24:25] offset:32 sc0 sc1
	s_waitcnt vmcnt(0)
	v_cmp_eq_u64_e32 vcc, v[0:1], v[2:3]
	s_or_b64 s[18:19], vcc, s[18:19]
	v_mov_b64_e32 v[2:3], v[0:1]
	s_andn2_b64 exec, exec, s[18:19]
	s_cbranch_execnz .LBB4_957
.LBB4_958:
	s_or_b64 exec, exec, s[16:17]
	v_mov_b32_e32 v3, 0
	global_load_dwordx2 v[0:1], v3, s[24:25] offset:16
	s_mov_b64 s[16:17], exec
	v_mbcnt_lo_u32_b32 v2, s16, 0
	v_mbcnt_hi_u32_b32 v2, s17, v2
	v_cmp_eq_u32_e32 vcc, 0, v2
	s_and_saveexec_b64 s[18:19], vcc
	s_cbranch_execz .LBB4_960
; %bb.959:
	s_bcnt1_i32_b64 s7, s[16:17]
	v_mov_b32_e32 v2, s7
	buffer_wbl2 sc0 sc1
	s_waitcnt vmcnt(0)
	global_atomic_add_x2 v[0:1], v[2:3], off offset:8 sc1
.LBB4_960:
	s_or_b64 exec, exec, s[18:19]
	s_waitcnt vmcnt(0)
	global_load_dwordx2 v[2:3], v[0:1], off offset:16
	s_waitcnt vmcnt(0)
	v_cmp_eq_u64_e32 vcc, 0, v[2:3]
	s_cbranch_vccnz .LBB4_962
; %bb.961:
	global_load_dword v0, v[0:1], off offset:24
	v_mov_b32_e32 v1, 0
	buffer_wbl2 sc0 sc1
	s_waitcnt vmcnt(0)
	global_store_dwordx2 v[2:3], v[0:1], off sc0 sc1
	v_and_b32_e32 v0, 0xffffff, v0
	s_nop 0
	v_readfirstlane_b32 m0, v0
	s_sendmsg sendmsg(MSG_INTERRUPT)
.LBB4_962:
	s_or_b64 exec, exec, s[14:15]
	v_lshl_add_u64 v[0:1], v[6:7], 0, v[38:39]
	s_branch .LBB4_966
.LBB4_963:                              ;   in Loop: Header=BB4_966 Depth=1
	s_or_b64 exec, exec, s[14:15]
	v_readfirstlane_b32 s7, v2
	s_cmp_eq_u32 s7, 0
	s_cbranch_scc1 .LBB4_965
; %bb.964:                              ;   in Loop: Header=BB4_966 Depth=1
	s_sleep 1
	s_cbranch_execnz .LBB4_966
	s_branch .LBB4_968
.LBB4_965:
	s_branch .LBB4_968
.LBB4_966:                              ; =>This Inner Loop Header: Depth=1
	v_mov_b32_e32 v2, 1
	s_and_saveexec_b64 s[14:15], s[0:1]
	s_cbranch_execz .LBB4_963
; %bb.967:                              ;   in Loop: Header=BB4_966 Depth=1
	global_load_dword v2, v[8:9], off offset:20 sc0 sc1
	s_waitcnt vmcnt(0)
	buffer_inv sc0 sc1
	v_and_b32_e32 v2, 1, v2
	s_branch .LBB4_963
.LBB4_968:
	global_load_dwordx2 v[2:3], v[0:1], off
	s_and_saveexec_b64 s[14:15], s[0:1]
	s_cbranch_execz .LBB4_971
; %bb.969:
	v_mov_b32_e32 v8, 0
	global_load_dwordx2 v[0:1], v8, s[24:25] offset:40
	global_load_dwordx2 v[10:11], v8, s[24:25] offset:24 sc0 sc1
	global_load_dwordx2 v[12:13], v8, s[24:25]
	s_mov_b64 s[0:1], 0
	s_waitcnt vmcnt(2)
	v_lshl_add_u64 v[4:5], v[0:1], 0, 1
	v_lshl_add_u64 v[14:15], v[4:5], 0, s[12:13]
	v_cmp_eq_u64_e32 vcc, 0, v[14:15]
	s_waitcnt vmcnt(1)
	v_mov_b32_e32 v6, v10
	v_cndmask_b32_e32 v5, v15, v5, vcc
	v_cndmask_b32_e32 v4, v14, v4, vcc
	v_and_b32_e32 v1, v5, v1
	v_and_b32_e32 v0, v4, v0
	v_mul_lo_u32 v1, v1, 24
	v_mul_hi_u32 v7, v0, 24
	v_mul_lo_u32 v0, v0, 24
	v_add_u32_e32 v1, v7, v1
	s_waitcnt vmcnt(0)
	v_lshl_add_u64 v[0:1], v[12:13], 0, v[0:1]
	global_store_dwordx2 v[0:1], v[10:11], off
	v_mov_b32_e32 v7, v11
	buffer_wbl2 sc0 sc1
	s_waitcnt vmcnt(0)
	global_atomic_cmpswap_x2 v[6:7], v8, v[4:7], s[24:25] offset:24 sc0 sc1
	s_waitcnt vmcnt(0)
	v_cmp_ne_u64_e32 vcc, v[6:7], v[10:11]
	s_and_b64 exec, exec, vcc
	s_cbranch_execz .LBB4_971
.LBB4_970:                              ; =>This Inner Loop Header: Depth=1
	s_sleep 1
	global_store_dwordx2 v[0:1], v[6:7], off
	buffer_wbl2 sc0 sc1
	s_waitcnt vmcnt(0)
	global_atomic_cmpswap_x2 v[10:11], v8, v[4:7], s[24:25] offset:24 sc0 sc1
	s_waitcnt vmcnt(0)
	v_cmp_eq_u64_e32 vcc, v[10:11], v[6:7]
	s_or_b64 s[0:1], vcc, s[0:1]
	v_mov_b64_e32 v[6:7], v[10:11]
	s_andn2_b64 exec, exec, s[0:1]
	s_cbranch_execnz .LBB4_970
.LBB4_971:
	s_or_b64 exec, exec, s[14:15]
.LBB4_972:
	v_readfirstlane_b32 s0, v37
	s_waitcnt vmcnt(0)
	v_mov_b64_e32 v[0:1], 0
	v_cmp_eq_u32_e64 s[0:1], s0, v37
	s_and_saveexec_b64 s[12:13], s[0:1]
	s_cbranch_execz .LBB4_978
; %bb.973:
	v_mov_b32_e32 v4, 0
	global_load_dwordx2 v[8:9], v4, s[24:25] offset:24 sc0 sc1
	s_waitcnt vmcnt(0)
	buffer_inv sc0 sc1
	global_load_dwordx2 v[0:1], v4, s[24:25] offset:40
	global_load_dwordx2 v[6:7], v4, s[24:25]
	s_waitcnt vmcnt(1)
	v_and_b32_e32 v0, v0, v8
	v_and_b32_e32 v1, v1, v9
	v_mul_lo_u32 v1, v1, 24
	v_mul_hi_u32 v5, v0, 24
	v_add_u32_e32 v1, v5, v1
	v_mul_lo_u32 v0, v0, 24
	s_waitcnt vmcnt(0)
	v_lshl_add_u64 v[0:1], v[6:7], 0, v[0:1]
	global_load_dwordx2 v[6:7], v[0:1], off sc0 sc1
	s_waitcnt vmcnt(0)
	global_atomic_cmpswap_x2 v[0:1], v4, v[6:9], s[24:25] offset:24 sc0 sc1
	s_waitcnt vmcnt(0)
	buffer_inv sc0 sc1
	v_cmp_ne_u64_e32 vcc, v[0:1], v[8:9]
	s_and_saveexec_b64 s[14:15], vcc
	s_cbranch_execz .LBB4_977
; %bb.974:
	s_mov_b64 s[16:17], 0
.LBB4_975:                              ; =>This Inner Loop Header: Depth=1
	s_sleep 1
	global_load_dwordx2 v[6:7], v4, s[24:25] offset:40
	global_load_dwordx2 v[10:11], v4, s[24:25]
	v_mov_b64_e32 v[8:9], v[0:1]
	s_waitcnt vmcnt(1)
	v_and_b32_e32 v0, v6, v8
	s_waitcnt vmcnt(0)
	v_mad_u64_u32 v[0:1], s[18:19], v0, 24, v[10:11]
	v_and_b32_e32 v5, v7, v9
	v_mov_b32_e32 v6, v1
	v_mad_u64_u32 v[6:7], s[18:19], v5, 24, v[6:7]
	v_mov_b32_e32 v1, v6
	global_load_dwordx2 v[6:7], v[0:1], off sc0 sc1
	s_waitcnt vmcnt(0)
	global_atomic_cmpswap_x2 v[0:1], v4, v[6:9], s[24:25] offset:24 sc0 sc1
	s_waitcnt vmcnt(0)
	buffer_inv sc0 sc1
	v_cmp_eq_u64_e32 vcc, v[0:1], v[8:9]
	s_or_b64 s[16:17], vcc, s[16:17]
	s_andn2_b64 exec, exec, s[16:17]
	s_cbranch_execnz .LBB4_975
; %bb.976:
	s_or_b64 exec, exec, s[16:17]
.LBB4_977:
	s_or_b64 exec, exec, s[14:15]
.LBB4_978:
	s_or_b64 exec, exec, s[12:13]
	v_mov_b32_e32 v5, 0
	global_load_dwordx2 v[10:11], v5, s[24:25] offset:40
	global_load_dwordx4 v[6:9], v5, s[24:25]
	v_readfirstlane_b32 s12, v0
	v_readfirstlane_b32 s13, v1
	s_mov_b64 s[14:15], exec
	s_waitcnt vmcnt(1)
	v_readfirstlane_b32 s16, v10
	v_readfirstlane_b32 s17, v11
	s_and_b64 s[16:17], s[12:13], s[16:17]
	s_mul_i32 s7, s17, 24
	s_mul_hi_u32 s18, s16, 24
	s_add_i32 s19, s18, s7
	s_mul_i32 s18, s16, 24
	s_waitcnt vmcnt(0)
	v_lshl_add_u64 v[10:11], v[6:7], 0, s[18:19]
	s_and_saveexec_b64 s[18:19], s[0:1]
	s_cbranch_execz .LBB4_980
; %bb.979:
	v_mov_b64_e32 v[12:13], s[14:15]
	v_mov_b32_e32 v14, 2
	v_mov_b32_e32 v15, 1
	global_store_dwordx4 v[10:11], v[12:15], off offset:8
.LBB4_980:
	s_or_b64 exec, exec, s[18:19]
	s_lshl_b64 s[14:15], s[16:17], 12
	v_lshl_add_u64 v[0:1], v[8:9], 0, s[14:15]
	s_movk_i32 s7, 0xff1d
	s_mov_b32 s16, 0
	v_and_or_b32 v2, v2, s7, 34
	v_mov_b32_e32 v4, 0x25d
	v_readfirstlane_b32 s14, v0
	v_readfirstlane_b32 s15, v1
	s_mov_b32 s17, s16
	s_mov_b32 s18, s16
	;; [unrolled: 1-line block ×3, first 2 shown]
	s_nop 1
	global_store_dwordx4 v38, v[2:5], s[14:15]
	v_mov_b64_e32 v[0:1], s[16:17]
	s_nop 0
	v_mov_b64_e32 v[2:3], s[18:19]
	global_store_dwordx4 v38, v[0:3], s[14:15] offset:16
	global_store_dwordx4 v38, v[0:3], s[14:15] offset:32
	;; [unrolled: 1-line block ×3, first 2 shown]
	s_and_saveexec_b64 s[14:15], s[0:1]
	s_cbranch_execz .LBB4_988
; %bb.981:
	v_mov_b32_e32 v8, 0
	global_load_dwordx2 v[14:15], v8, s[24:25] offset:32 sc0 sc1
	global_load_dwordx2 v[0:1], v8, s[24:25] offset:40
	v_mov_b32_e32 v12, s12
	v_mov_b32_e32 v13, s13
	s_waitcnt vmcnt(0)
	v_readfirstlane_b32 s16, v0
	v_readfirstlane_b32 s17, v1
	s_and_b64 s[16:17], s[16:17], s[12:13]
	s_mul_i32 s7, s17, 24
	s_mul_hi_u32 s17, s16, 24
	s_mul_i32 s16, s16, 24
	s_add_i32 s17, s17, s7
	v_lshl_add_u64 v[4:5], v[6:7], 0, s[16:17]
	global_store_dwordx2 v[4:5], v[14:15], off
	buffer_wbl2 sc0 sc1
	s_waitcnt vmcnt(0)
	global_atomic_cmpswap_x2 v[2:3], v8, v[12:15], s[24:25] offset:32 sc0 sc1
	s_waitcnt vmcnt(0)
	v_cmp_ne_u64_e32 vcc, v[2:3], v[14:15]
	s_and_saveexec_b64 s[16:17], vcc
	s_cbranch_execz .LBB4_984
; %bb.982:
	s_mov_b64 s[18:19], 0
.LBB4_983:                              ; =>This Inner Loop Header: Depth=1
	s_sleep 1
	global_store_dwordx2 v[4:5], v[2:3], off
	v_mov_b32_e32 v0, s12
	v_mov_b32_e32 v1, s13
	buffer_wbl2 sc0 sc1
	s_waitcnt vmcnt(0)
	global_atomic_cmpswap_x2 v[0:1], v8, v[0:3], s[24:25] offset:32 sc0 sc1
	s_waitcnt vmcnt(0)
	v_cmp_eq_u64_e32 vcc, v[0:1], v[2:3]
	s_or_b64 s[18:19], vcc, s[18:19]
	v_mov_b64_e32 v[2:3], v[0:1]
	s_andn2_b64 exec, exec, s[18:19]
	s_cbranch_execnz .LBB4_983
.LBB4_984:
	s_or_b64 exec, exec, s[16:17]
	v_mov_b32_e32 v3, 0
	global_load_dwordx2 v[0:1], v3, s[24:25] offset:16
	s_mov_b64 s[16:17], exec
	v_mbcnt_lo_u32_b32 v2, s16, 0
	v_mbcnt_hi_u32_b32 v2, s17, v2
	v_cmp_eq_u32_e32 vcc, 0, v2
	s_and_saveexec_b64 s[18:19], vcc
	s_cbranch_execz .LBB4_986
; %bb.985:
	s_bcnt1_i32_b64 s7, s[16:17]
	v_mov_b32_e32 v2, s7
	buffer_wbl2 sc0 sc1
	s_waitcnt vmcnt(0)
	global_atomic_add_x2 v[0:1], v[2:3], off offset:8 sc1
.LBB4_986:
	s_or_b64 exec, exec, s[18:19]
	s_waitcnt vmcnt(0)
	global_load_dwordx2 v[2:3], v[0:1], off offset:16
	s_waitcnt vmcnt(0)
	v_cmp_eq_u64_e32 vcc, 0, v[2:3]
	s_cbranch_vccnz .LBB4_988
; %bb.987:
	global_load_dword v0, v[0:1], off offset:24
	v_mov_b32_e32 v1, 0
	buffer_wbl2 sc0 sc1
	s_waitcnt vmcnt(0)
	global_store_dwordx2 v[2:3], v[0:1], off sc0 sc1
	v_and_b32_e32 v0, 0xffffff, v0
	s_nop 0
	v_readfirstlane_b32 m0, v0
	s_sendmsg sendmsg(MSG_INTERRUPT)
.LBB4_988:
	s_or_b64 exec, exec, s[14:15]
	s_branch .LBB4_992
.LBB4_989:                              ;   in Loop: Header=BB4_992 Depth=1
	s_or_b64 exec, exec, s[14:15]
	v_readfirstlane_b32 s7, v0
	s_cmp_eq_u32 s7, 0
	s_cbranch_scc1 .LBB4_991
; %bb.990:                              ;   in Loop: Header=BB4_992 Depth=1
	s_sleep 1
	s_cbranch_execnz .LBB4_992
	s_branch .LBB4_994
.LBB4_991:
	s_branch .LBB4_994
.LBB4_992:                              ; =>This Inner Loop Header: Depth=1
	v_mov_b32_e32 v0, 1
	s_and_saveexec_b64 s[14:15], s[0:1]
	s_cbranch_execz .LBB4_989
; %bb.993:                              ;   in Loop: Header=BB4_992 Depth=1
	global_load_dword v0, v[10:11], off offset:20 sc0 sc1
	s_waitcnt vmcnt(0)
	buffer_inv sc0 sc1
	v_and_b32_e32 v0, 1, v0
	s_branch .LBB4_989
.LBB4_994:
	s_and_saveexec_b64 s[14:15], s[0:1]
	s_cbranch_execz .LBB4_997
; %bb.995:
	v_mov_b32_e32 v6, 0
	global_load_dwordx2 v[4:5], v6, s[24:25] offset:40
	global_load_dwordx2 v[8:9], v6, s[24:25] offset:24 sc0 sc1
	global_load_dwordx2 v[10:11], v6, s[24:25]
	s_mov_b64 s[0:1], 0
	s_waitcnt vmcnt(2)
	v_lshl_add_u64 v[0:1], v[4:5], 0, 1
	v_lshl_add_u64 v[12:13], v[0:1], 0, s[12:13]
	v_cmp_eq_u64_e32 vcc, 0, v[12:13]
	s_waitcnt vmcnt(1)
	v_mov_b32_e32 v2, v8
	v_cndmask_b32_e32 v1, v13, v1, vcc
	v_cndmask_b32_e32 v0, v12, v0, vcc
	v_and_b32_e32 v3, v1, v5
	v_and_b32_e32 v4, v0, v4
	v_mul_lo_u32 v3, v3, 24
	v_mul_hi_u32 v5, v4, 24
	v_mul_lo_u32 v4, v4, 24
	v_add_u32_e32 v5, v5, v3
	s_waitcnt vmcnt(0)
	v_lshl_add_u64 v[4:5], v[10:11], 0, v[4:5]
	global_store_dwordx2 v[4:5], v[8:9], off
	v_mov_b32_e32 v3, v9
	buffer_wbl2 sc0 sc1
	s_waitcnt vmcnt(0)
	global_atomic_cmpswap_x2 v[2:3], v6, v[0:3], s[24:25] offset:24 sc0 sc1
	s_waitcnt vmcnt(0)
	v_cmp_ne_u64_e32 vcc, v[2:3], v[8:9]
	s_and_b64 exec, exec, vcc
	s_cbranch_execz .LBB4_997
.LBB4_996:                              ; =>This Inner Loop Header: Depth=1
	s_sleep 1
	global_store_dwordx2 v[4:5], v[2:3], off
	buffer_wbl2 sc0 sc1
	s_waitcnt vmcnt(0)
	global_atomic_cmpswap_x2 v[8:9], v6, v[0:3], s[24:25] offset:24 sc0 sc1
	s_waitcnt vmcnt(0)
	v_cmp_eq_u64_e32 vcc, v[8:9], v[2:3]
	s_or_b64 s[0:1], vcc, s[0:1]
	v_mov_b64_e32 v[2:3], v[8:9]
	s_andn2_b64 exec, exec, s[0:1]
	s_cbranch_execnz .LBB4_996
.LBB4_997:
	s_or_b64 exec, exec, s[14:15]
	v_readfirstlane_b32 s0, v37
	v_mov_b64_e32 v[4:5], 0
	s_nop 0
	v_cmp_eq_u32_e64 s[0:1], s0, v37
	s_and_saveexec_b64 s[12:13], s[0:1]
	s_cbranch_execz .LBB4_1003
; %bb.998:
	v_mov_b32_e32 v0, 0
	global_load_dwordx2 v[6:7], v0, s[24:25] offset:24 sc0 sc1
	s_waitcnt vmcnt(0)
	buffer_inv sc0 sc1
	global_load_dwordx2 v[2:3], v0, s[24:25] offset:40
	global_load_dwordx2 v[4:5], v0, s[24:25]
	s_waitcnt vmcnt(1)
	v_and_b32_e32 v1, v2, v6
	v_and_b32_e32 v2, v3, v7
	v_mul_lo_u32 v2, v2, 24
	v_mul_hi_u32 v3, v1, 24
	v_add_u32_e32 v3, v3, v2
	v_mul_lo_u32 v2, v1, 24
	s_waitcnt vmcnt(0)
	v_lshl_add_u64 v[2:3], v[4:5], 0, v[2:3]
	global_load_dwordx2 v[4:5], v[2:3], off sc0 sc1
	s_waitcnt vmcnt(0)
	global_atomic_cmpswap_x2 v[4:5], v0, v[4:7], s[24:25] offset:24 sc0 sc1
	s_waitcnt vmcnt(0)
	buffer_inv sc0 sc1
	v_cmp_ne_u64_e32 vcc, v[4:5], v[6:7]
	s_and_saveexec_b64 s[14:15], vcc
	s_cbranch_execz .LBB4_1002
; %bb.999:
	s_mov_b64 s[16:17], 0
.LBB4_1000:                             ; =>This Inner Loop Header: Depth=1
	s_sleep 1
	global_load_dwordx2 v[2:3], v0, s[24:25] offset:40
	global_load_dwordx2 v[8:9], v0, s[24:25]
	v_mov_b64_e32 v[6:7], v[4:5]
	s_waitcnt vmcnt(1)
	v_and_b32_e32 v2, v2, v6
	v_and_b32_e32 v1, v3, v7
	s_waitcnt vmcnt(0)
	v_mad_u64_u32 v[2:3], s[18:19], v2, 24, v[8:9]
	v_mov_b32_e32 v4, v3
	v_mad_u64_u32 v[4:5], s[18:19], v1, 24, v[4:5]
	v_mov_b32_e32 v3, v4
	global_load_dwordx2 v[4:5], v[2:3], off sc0 sc1
	s_waitcnt vmcnt(0)
	global_atomic_cmpswap_x2 v[4:5], v0, v[4:7], s[24:25] offset:24 sc0 sc1
	s_waitcnt vmcnt(0)
	buffer_inv sc0 sc1
	v_cmp_eq_u64_e32 vcc, v[4:5], v[6:7]
	s_or_b64 s[16:17], vcc, s[16:17]
	s_andn2_b64 exec, exec, s[16:17]
	s_cbranch_execnz .LBB4_1000
; %bb.1001:
	s_or_b64 exec, exec, s[16:17]
.LBB4_1002:
	s_or_b64 exec, exec, s[14:15]
.LBB4_1003:
	s_or_b64 exec, exec, s[12:13]
	v_mov_b32_e32 v39, 0
	global_load_dwordx2 v[6:7], v39, s[24:25] offset:40
	global_load_dwordx4 v[0:3], v39, s[24:25]
	v_readfirstlane_b32 s12, v4
	v_readfirstlane_b32 s13, v5
	s_mov_b64 s[14:15], exec
	s_waitcnt vmcnt(1)
	v_readfirstlane_b32 s16, v6
	v_readfirstlane_b32 s17, v7
	s_and_b64 s[16:17], s[12:13], s[16:17]
	s_mul_i32 s7, s17, 24
	s_mul_hi_u32 s18, s16, 24
	s_add_i32 s19, s18, s7
	s_mul_i32 s18, s16, 24
	s_waitcnt vmcnt(0)
	v_lshl_add_u64 v[4:5], v[0:1], 0, s[18:19]
	s_and_saveexec_b64 s[18:19], s[0:1]
	s_cbranch_execz .LBB4_1005
; %bb.1004:
	v_mov_b64_e32 v[6:7], s[14:15]
	v_mov_b32_e32 v8, 2
	v_mov_b32_e32 v9, 1
	global_store_dwordx4 v[4:5], v[6:9], off offset:8
.LBB4_1005:
	s_or_b64 exec, exec, s[18:19]
	s_lshl_b64 s[14:15], s[16:17], 12
	v_lshl_add_u64 v[6:7], v[2:3], 0, s[14:15]
	s_mov_b32 s16, 0
	v_mov_b32_e32 v8, 33
	v_mov_b32_e32 v9, v39
	;; [unrolled: 1-line block ×4, first 2 shown]
	v_readfirstlane_b32 s14, v6
	v_readfirstlane_b32 s15, v7
	s_mov_b32 s17, s16
	s_mov_b32 s18, s16
	;; [unrolled: 1-line block ×3, first 2 shown]
	s_nop 1
	global_store_dwordx4 v38, v[8:11], s[14:15]
	s_nop 1
	v_mov_b64_e32 v[8:9], s[16:17]
	v_mov_b64_e32 v[10:11], s[18:19]
	global_store_dwordx4 v38, v[8:11], s[14:15] offset:16
	global_store_dwordx4 v38, v[8:11], s[14:15] offset:32
	;; [unrolled: 1-line block ×3, first 2 shown]
	s_and_saveexec_b64 s[14:15], s[0:1]
	s_cbranch_execz .LBB4_1013
; %bb.1006:
	v_mov_b32_e32 v10, 0
	global_load_dwordx2 v[14:15], v10, s[24:25] offset:32 sc0 sc1
	global_load_dwordx2 v[2:3], v10, s[24:25] offset:40
	v_mov_b32_e32 v12, s12
	v_mov_b32_e32 v13, s13
	s_waitcnt vmcnt(0)
	v_readfirstlane_b32 s16, v2
	v_readfirstlane_b32 s17, v3
	s_and_b64 s[16:17], s[16:17], s[12:13]
	s_mul_i32 s7, s17, 24
	s_mul_hi_u32 s17, s16, 24
	s_mul_i32 s16, s16, 24
	s_add_i32 s17, s17, s7
	v_lshl_add_u64 v[8:9], v[0:1], 0, s[16:17]
	global_store_dwordx2 v[8:9], v[14:15], off
	buffer_wbl2 sc0 sc1
	s_waitcnt vmcnt(0)
	global_atomic_cmpswap_x2 v[2:3], v10, v[12:15], s[24:25] offset:32 sc0 sc1
	s_waitcnt vmcnt(0)
	v_cmp_ne_u64_e32 vcc, v[2:3], v[14:15]
	s_and_saveexec_b64 s[16:17], vcc
	s_cbranch_execz .LBB4_1009
; %bb.1007:
	s_mov_b64 s[18:19], 0
.LBB4_1008:                             ; =>This Inner Loop Header: Depth=1
	s_sleep 1
	global_store_dwordx2 v[8:9], v[2:3], off
	v_mov_b32_e32 v0, s12
	v_mov_b32_e32 v1, s13
	buffer_wbl2 sc0 sc1
	s_waitcnt vmcnt(0)
	global_atomic_cmpswap_x2 v[0:1], v10, v[0:3], s[24:25] offset:32 sc0 sc1
	s_waitcnt vmcnt(0)
	v_cmp_eq_u64_e32 vcc, v[0:1], v[2:3]
	s_or_b64 s[18:19], vcc, s[18:19]
	v_mov_b64_e32 v[2:3], v[0:1]
	s_andn2_b64 exec, exec, s[18:19]
	s_cbranch_execnz .LBB4_1008
.LBB4_1009:
	s_or_b64 exec, exec, s[16:17]
	v_mov_b32_e32 v3, 0
	global_load_dwordx2 v[0:1], v3, s[24:25] offset:16
	s_mov_b64 s[16:17], exec
	v_mbcnt_lo_u32_b32 v2, s16, 0
	v_mbcnt_hi_u32_b32 v2, s17, v2
	v_cmp_eq_u32_e32 vcc, 0, v2
	s_and_saveexec_b64 s[18:19], vcc
	s_cbranch_execz .LBB4_1011
; %bb.1010:
	s_bcnt1_i32_b64 s7, s[16:17]
	v_mov_b32_e32 v2, s7
	buffer_wbl2 sc0 sc1
	s_waitcnt vmcnt(0)
	global_atomic_add_x2 v[0:1], v[2:3], off offset:8 sc1
.LBB4_1011:
	s_or_b64 exec, exec, s[18:19]
	s_waitcnt vmcnt(0)
	global_load_dwordx2 v[2:3], v[0:1], off offset:16
	s_waitcnt vmcnt(0)
	v_cmp_eq_u64_e32 vcc, 0, v[2:3]
	s_cbranch_vccnz .LBB4_1013
; %bb.1012:
	global_load_dword v0, v[0:1], off offset:24
	v_mov_b32_e32 v1, 0
	buffer_wbl2 sc0 sc1
	s_waitcnt vmcnt(0)
	global_store_dwordx2 v[2:3], v[0:1], off sc0 sc1
	v_and_b32_e32 v0, 0xffffff, v0
	s_nop 0
	v_readfirstlane_b32 m0, v0
	s_sendmsg sendmsg(MSG_INTERRUPT)
.LBB4_1013:
	s_or_b64 exec, exec, s[14:15]
	v_lshl_add_u64 v[0:1], v[6:7], 0, v[38:39]
	s_branch .LBB4_1017
.LBB4_1014:                             ;   in Loop: Header=BB4_1017 Depth=1
	s_or_b64 exec, exec, s[14:15]
	v_readfirstlane_b32 s7, v2
	s_cmp_eq_u32 s7, 0
	s_cbranch_scc1 .LBB4_1016
; %bb.1015:                             ;   in Loop: Header=BB4_1017 Depth=1
	s_sleep 1
	s_cbranch_execnz .LBB4_1017
	s_branch .LBB4_1019
.LBB4_1016:
	s_branch .LBB4_1019
.LBB4_1017:                             ; =>This Inner Loop Header: Depth=1
	v_mov_b32_e32 v2, 1
	s_and_saveexec_b64 s[14:15], s[0:1]
	s_cbranch_execz .LBB4_1014
; %bb.1018:                             ;   in Loop: Header=BB4_1017 Depth=1
	global_load_dword v2, v[4:5], off offset:20 sc0 sc1
	s_waitcnt vmcnt(0)
	buffer_inv sc0 sc1
	v_and_b32_e32 v2, 1, v2
	s_branch .LBB4_1014
.LBB4_1019:
	global_load_dwordx2 v[0:1], v[0:1], off
	s_and_saveexec_b64 s[14:15], s[0:1]
	s_cbranch_execz .LBB4_1022
; %bb.1020:
	v_mov_b32_e32 v8, 0
	global_load_dwordx2 v[6:7], v8, s[24:25] offset:40
	global_load_dwordx2 v[10:11], v8, s[24:25] offset:24 sc0 sc1
	global_load_dwordx2 v[12:13], v8, s[24:25]
	s_mov_b64 s[0:1], 0
	s_waitcnt vmcnt(2)
	v_lshl_add_u64 v[2:3], v[6:7], 0, 1
	v_lshl_add_u64 v[14:15], v[2:3], 0, s[12:13]
	v_cmp_eq_u64_e32 vcc, 0, v[14:15]
	s_waitcnt vmcnt(1)
	v_mov_b32_e32 v4, v10
	v_cndmask_b32_e32 v3, v15, v3, vcc
	v_cndmask_b32_e32 v2, v14, v2, vcc
	v_and_b32_e32 v5, v3, v7
	v_and_b32_e32 v6, v2, v6
	v_mul_lo_u32 v5, v5, 24
	v_mul_hi_u32 v7, v6, 24
	v_mul_lo_u32 v6, v6, 24
	v_add_u32_e32 v7, v7, v5
	s_waitcnt vmcnt(0)
	v_lshl_add_u64 v[6:7], v[12:13], 0, v[6:7]
	global_store_dwordx2 v[6:7], v[10:11], off
	v_mov_b32_e32 v5, v11
	buffer_wbl2 sc0 sc1
	s_waitcnt vmcnt(0)
	global_atomic_cmpswap_x2 v[4:5], v8, v[2:5], s[24:25] offset:24 sc0 sc1
	s_waitcnt vmcnt(0)
	v_cmp_ne_u64_e32 vcc, v[4:5], v[10:11]
	s_and_b64 exec, exec, vcc
	s_cbranch_execz .LBB4_1022
.LBB4_1021:                             ; =>This Inner Loop Header: Depth=1
	s_sleep 1
	global_store_dwordx2 v[6:7], v[4:5], off
	buffer_wbl2 sc0 sc1
	s_waitcnt vmcnt(0)
	global_atomic_cmpswap_x2 v[10:11], v8, v[2:5], s[24:25] offset:24 sc0 sc1
	s_waitcnt vmcnt(0)
	v_cmp_eq_u64_e32 vcc, v[10:11], v[4:5]
	s_or_b64 s[0:1], vcc, s[0:1]
	v_mov_b64_e32 v[4:5], v[10:11]
	s_andn2_b64 exec, exec, s[0:1]
	s_cbranch_execnz .LBB4_1021
.LBB4_1022:
	s_or_b64 exec, exec, s[14:15]
	s_and_b64 vcc, exec, s[26:27]
	s_cbranch_vccz .LBB4_1107
; %bb.1023:
	s_waitcnt vmcnt(0)
	v_and_b32_e32 v28, 2, v0
	v_mov_b32_e32 v31, 0
	v_and_b32_e32 v2, -3, v0
	v_mov_b32_e32 v3, v1
	s_mov_b64 s[14:15], 3
	v_mov_b32_e32 v6, 2
	v_mov_b32_e32 v7, 1
	s_getpc_b64 s[12:13]
	s_add_u32 s12, s12, .str.6@rel32@lo+4
	s_addc_u32 s13, s13, .str.6@rel32@hi+12
	s_branch .LBB4_1025
.LBB4_1024:                             ;   in Loop: Header=BB4_1025 Depth=1
	s_or_b64 exec, exec, s[20:21]
	s_sub_u32 s14, s14, s16
	s_subb_u32 s15, s15, s17
	s_add_u32 s12, s12, s16
	s_addc_u32 s13, s13, s17
	s_cmp_lg_u64 s[14:15], 0
	s_cbranch_scc0 .LBB4_1106
.LBB4_1025:                             ; =>This Loop Header: Depth=1
                                        ;     Child Loop BB4_1028 Depth 2
                                        ;     Child Loop BB4_1035 Depth 2
	;; [unrolled: 1-line block ×11, first 2 shown]
	v_cmp_lt_u64_e64 s[0:1], s[14:15], 56
	s_and_b64 s[0:1], s[0:1], exec
	v_cmp_gt_u64_e64 s[0:1], s[14:15], 7
	s_cselect_b32 s17, s15, 0
	s_cselect_b32 s16, s14, 56
	s_and_b64 vcc, exec, s[0:1]
	s_cbranch_vccnz .LBB4_1030
; %bb.1026:                             ;   in Loop: Header=BB4_1025 Depth=1
	s_mov_b64 s[0:1], 0
	s_cmp_eq_u64 s[14:15], 0
	v_mov_b64_e32 v[10:11], 0
	s_cbranch_scc1 .LBB4_1029
; %bb.1027:                             ;   in Loop: Header=BB4_1025 Depth=1
	s_lshl_b64 s[18:19], s[16:17], 3
	s_mov_b64 s[20:21], 0
	v_mov_b64_e32 v[10:11], 0
	s_mov_b64 s[28:29], s[12:13]
.LBB4_1028:                             ;   Parent Loop BB4_1025 Depth=1
                                        ; =>  This Inner Loop Header: Depth=2
	global_load_ubyte v4, v31, s[28:29]
	s_waitcnt vmcnt(0)
	v_and_b32_e32 v30, 0xffff, v4
	v_lshlrev_b64 v[4:5], s20, v[30:31]
	s_add_u32 s20, s20, 8
	s_addc_u32 s21, s21, 0
	s_add_u32 s28, s28, 1
	s_addc_u32 s29, s29, 0
	v_or_b32_e32 v10, v4, v10
	s_cmp_lg_u32 s18, s20
	v_or_b32_e32 v11, v5, v11
	s_cbranch_scc1 .LBB4_1028
.LBB4_1029:                             ;   in Loop: Header=BB4_1025 Depth=1
	s_mov_b32 s7, 0
	s_andn2_b64 vcc, exec, s[0:1]
	s_mov_b64 s[0:1], s[12:13]
	s_cbranch_vccz .LBB4_1031
	s_branch .LBB4_1032
.LBB4_1030:                             ;   in Loop: Header=BB4_1025 Depth=1
                                        ; implicit-def: $vgpr10_vgpr11
                                        ; implicit-def: $sgpr7
	s_mov_b64 s[0:1], s[12:13]
.LBB4_1031:                             ;   in Loop: Header=BB4_1025 Depth=1
	global_load_dwordx2 v[10:11], v31, s[12:13]
	s_add_i32 s7, s16, -8
	s_add_u32 s0, s12, 8
	s_addc_u32 s1, s13, 0
.LBB4_1032:                             ;   in Loop: Header=BB4_1025 Depth=1
	s_cmp_gt_u32 s7, 7
	s_cbranch_scc1 .LBB4_1036
; %bb.1033:                             ;   in Loop: Header=BB4_1025 Depth=1
	s_cmp_eq_u32 s7, 0
	s_cbranch_scc1 .LBB4_1037
; %bb.1034:                             ;   in Loop: Header=BB4_1025 Depth=1
	s_mov_b64 s[18:19], 0
	v_mov_b64_e32 v[12:13], 0
	s_mov_b64 s[20:21], 0
.LBB4_1035:                             ;   Parent Loop BB4_1025 Depth=1
                                        ; =>  This Inner Loop Header: Depth=2
	s_add_u32 s28, s0, s20
	s_addc_u32 s29, s1, s21
	global_load_ubyte v4, v31, s[28:29]
	s_add_u32 s20, s20, 1
	s_addc_u32 s21, s21, 0
	s_waitcnt vmcnt(0)
	v_and_b32_e32 v30, 0xffff, v4
	v_lshlrev_b64 v[4:5], s18, v[30:31]
	s_add_u32 s18, s18, 8
	s_addc_u32 s19, s19, 0
	v_or_b32_e32 v12, v4, v12
	s_cmp_lg_u32 s7, s20
	v_or_b32_e32 v13, v5, v13
	s_cbranch_scc1 .LBB4_1035
	s_branch .LBB4_1038
.LBB4_1036:                             ;   in Loop: Header=BB4_1025 Depth=1
                                        ; implicit-def: $vgpr12_vgpr13
                                        ; implicit-def: $sgpr28
	s_branch .LBB4_1039
.LBB4_1037:                             ;   in Loop: Header=BB4_1025 Depth=1
	v_mov_b64_e32 v[12:13], 0
.LBB4_1038:                             ;   in Loop: Header=BB4_1025 Depth=1
	s_mov_b32 s28, 0
	s_cbranch_execnz .LBB4_1040
.LBB4_1039:                             ;   in Loop: Header=BB4_1025 Depth=1
	global_load_dwordx2 v[12:13], v31, s[0:1]
	s_add_i32 s28, s7, -8
	s_add_u32 s0, s0, 8
	s_addc_u32 s1, s1, 0
.LBB4_1040:                             ;   in Loop: Header=BB4_1025 Depth=1
	s_cmp_gt_u32 s28, 7
	s_cbranch_scc1 .LBB4_1044
; %bb.1041:                             ;   in Loop: Header=BB4_1025 Depth=1
	s_cmp_eq_u32 s28, 0
	s_cbranch_scc1 .LBB4_1045
; %bb.1042:                             ;   in Loop: Header=BB4_1025 Depth=1
	s_mov_b64 s[18:19], 0
	v_mov_b64_e32 v[14:15], 0
	s_mov_b64 s[20:21], 0
.LBB4_1043:                             ;   Parent Loop BB4_1025 Depth=1
                                        ; =>  This Inner Loop Header: Depth=2
	s_add_u32 s30, s0, s20
	s_addc_u32 s31, s1, s21
	global_load_ubyte v4, v31, s[30:31]
	s_add_u32 s20, s20, 1
	s_addc_u32 s21, s21, 0
	s_waitcnt vmcnt(0)
	v_and_b32_e32 v30, 0xffff, v4
	v_lshlrev_b64 v[4:5], s18, v[30:31]
	s_add_u32 s18, s18, 8
	s_addc_u32 s19, s19, 0
	v_or_b32_e32 v14, v4, v14
	s_cmp_lg_u32 s28, s20
	v_or_b32_e32 v15, v5, v15
	s_cbranch_scc1 .LBB4_1043
	s_branch .LBB4_1046
.LBB4_1044:                             ;   in Loop: Header=BB4_1025 Depth=1
                                        ; implicit-def: $sgpr7
	s_branch .LBB4_1047
.LBB4_1045:                             ;   in Loop: Header=BB4_1025 Depth=1
	v_mov_b64_e32 v[14:15], 0
.LBB4_1046:                             ;   in Loop: Header=BB4_1025 Depth=1
	s_mov_b32 s7, 0
	s_cbranch_execnz .LBB4_1048
.LBB4_1047:                             ;   in Loop: Header=BB4_1025 Depth=1
	global_load_dwordx2 v[14:15], v31, s[0:1]
	s_add_i32 s7, s28, -8
	s_add_u32 s0, s0, 8
	s_addc_u32 s1, s1, 0
.LBB4_1048:                             ;   in Loop: Header=BB4_1025 Depth=1
	s_cmp_gt_u32 s7, 7
	s_cbranch_scc1 .LBB4_1052
; %bb.1049:                             ;   in Loop: Header=BB4_1025 Depth=1
	s_cmp_eq_u32 s7, 0
	s_cbranch_scc1 .LBB4_1053
; %bb.1050:                             ;   in Loop: Header=BB4_1025 Depth=1
	s_mov_b64 s[18:19], 0
	v_mov_b64_e32 v[16:17], 0
	s_mov_b64 s[20:21], 0
.LBB4_1051:                             ;   Parent Loop BB4_1025 Depth=1
                                        ; =>  This Inner Loop Header: Depth=2
	s_add_u32 s28, s0, s20
	s_addc_u32 s29, s1, s21
	global_load_ubyte v4, v31, s[28:29]
	s_add_u32 s20, s20, 1
	s_addc_u32 s21, s21, 0
	s_waitcnt vmcnt(0)
	v_and_b32_e32 v30, 0xffff, v4
	v_lshlrev_b64 v[4:5], s18, v[30:31]
	s_add_u32 s18, s18, 8
	s_addc_u32 s19, s19, 0
	v_or_b32_e32 v16, v4, v16
	s_cmp_lg_u32 s7, s20
	v_or_b32_e32 v17, v5, v17
	s_cbranch_scc1 .LBB4_1051
	s_branch .LBB4_1054
.LBB4_1052:                             ;   in Loop: Header=BB4_1025 Depth=1
                                        ; implicit-def: $vgpr16_vgpr17
                                        ; implicit-def: $sgpr28
	s_branch .LBB4_1055
.LBB4_1053:                             ;   in Loop: Header=BB4_1025 Depth=1
	v_mov_b64_e32 v[16:17], 0
.LBB4_1054:                             ;   in Loop: Header=BB4_1025 Depth=1
	s_mov_b32 s28, 0
	s_cbranch_execnz .LBB4_1056
.LBB4_1055:                             ;   in Loop: Header=BB4_1025 Depth=1
	global_load_dwordx2 v[16:17], v31, s[0:1]
	s_add_i32 s28, s7, -8
	s_add_u32 s0, s0, 8
	s_addc_u32 s1, s1, 0
.LBB4_1056:                             ;   in Loop: Header=BB4_1025 Depth=1
	s_cmp_gt_u32 s28, 7
	s_cbranch_scc1 .LBB4_1060
; %bb.1057:                             ;   in Loop: Header=BB4_1025 Depth=1
	s_cmp_eq_u32 s28, 0
	s_cbranch_scc1 .LBB4_1061
; %bb.1058:                             ;   in Loop: Header=BB4_1025 Depth=1
	s_mov_b64 s[18:19], 0
	v_mov_b64_e32 v[18:19], 0
	s_mov_b64 s[20:21], 0
.LBB4_1059:                             ;   Parent Loop BB4_1025 Depth=1
                                        ; =>  This Inner Loop Header: Depth=2
	s_add_u32 s30, s0, s20
	s_addc_u32 s31, s1, s21
	global_load_ubyte v4, v31, s[30:31]
	s_add_u32 s20, s20, 1
	s_addc_u32 s21, s21, 0
	s_waitcnt vmcnt(0)
	v_and_b32_e32 v30, 0xffff, v4
	v_lshlrev_b64 v[4:5], s18, v[30:31]
	s_add_u32 s18, s18, 8
	s_addc_u32 s19, s19, 0
	v_or_b32_e32 v18, v4, v18
	s_cmp_lg_u32 s28, s20
	v_or_b32_e32 v19, v5, v19
	s_cbranch_scc1 .LBB4_1059
	s_branch .LBB4_1062
.LBB4_1060:                             ;   in Loop: Header=BB4_1025 Depth=1
                                        ; implicit-def: $sgpr7
	s_branch .LBB4_1063
.LBB4_1061:                             ;   in Loop: Header=BB4_1025 Depth=1
	v_mov_b64_e32 v[18:19], 0
.LBB4_1062:                             ;   in Loop: Header=BB4_1025 Depth=1
	s_mov_b32 s7, 0
	s_cbranch_execnz .LBB4_1064
.LBB4_1063:                             ;   in Loop: Header=BB4_1025 Depth=1
	global_load_dwordx2 v[18:19], v31, s[0:1]
	s_add_i32 s7, s28, -8
	s_add_u32 s0, s0, 8
	s_addc_u32 s1, s1, 0
.LBB4_1064:                             ;   in Loop: Header=BB4_1025 Depth=1
	s_cmp_gt_u32 s7, 7
	s_cbranch_scc1 .LBB4_1068
; %bb.1065:                             ;   in Loop: Header=BB4_1025 Depth=1
	s_cmp_eq_u32 s7, 0
	s_cbranch_scc1 .LBB4_1069
; %bb.1066:                             ;   in Loop: Header=BB4_1025 Depth=1
	s_mov_b64 s[18:19], 0
	v_mov_b64_e32 v[20:21], 0
	s_mov_b64 s[20:21], 0
.LBB4_1067:                             ;   Parent Loop BB4_1025 Depth=1
                                        ; =>  This Inner Loop Header: Depth=2
	s_add_u32 s28, s0, s20
	s_addc_u32 s29, s1, s21
	global_load_ubyte v4, v31, s[28:29]
	s_add_u32 s20, s20, 1
	s_addc_u32 s21, s21, 0
	s_waitcnt vmcnt(0)
	v_and_b32_e32 v30, 0xffff, v4
	v_lshlrev_b64 v[4:5], s18, v[30:31]
	s_add_u32 s18, s18, 8
	s_addc_u32 s19, s19, 0
	v_or_b32_e32 v20, v4, v20
	s_cmp_lg_u32 s7, s20
	v_or_b32_e32 v21, v5, v21
	s_cbranch_scc1 .LBB4_1067
	s_branch .LBB4_1070
.LBB4_1068:                             ;   in Loop: Header=BB4_1025 Depth=1
                                        ; implicit-def: $vgpr20_vgpr21
                                        ; implicit-def: $sgpr28
	s_branch .LBB4_1071
.LBB4_1069:                             ;   in Loop: Header=BB4_1025 Depth=1
	v_mov_b64_e32 v[20:21], 0
.LBB4_1070:                             ;   in Loop: Header=BB4_1025 Depth=1
	s_mov_b32 s28, 0
	s_cbranch_execnz .LBB4_1072
.LBB4_1071:                             ;   in Loop: Header=BB4_1025 Depth=1
	global_load_dwordx2 v[20:21], v31, s[0:1]
	s_add_i32 s28, s7, -8
	s_add_u32 s0, s0, 8
	s_addc_u32 s1, s1, 0
.LBB4_1072:                             ;   in Loop: Header=BB4_1025 Depth=1
	s_cmp_gt_u32 s28, 7
	s_cbranch_scc1 .LBB4_1076
; %bb.1073:                             ;   in Loop: Header=BB4_1025 Depth=1
	s_cmp_eq_u32 s28, 0
	s_cbranch_scc1 .LBB4_1077
; %bb.1074:                             ;   in Loop: Header=BB4_1025 Depth=1
	s_mov_b64 s[18:19], 0
	v_mov_b64_e32 v[22:23], 0
	s_mov_b64 s[20:21], s[0:1]
.LBB4_1075:                             ;   Parent Loop BB4_1025 Depth=1
                                        ; =>  This Inner Loop Header: Depth=2
	global_load_ubyte v4, v31, s[20:21]
	s_add_i32 s28, s28, -1
	s_waitcnt vmcnt(0)
	v_and_b32_e32 v30, 0xffff, v4
	v_lshlrev_b64 v[4:5], s18, v[30:31]
	s_add_u32 s18, s18, 8
	s_addc_u32 s19, s19, 0
	s_add_u32 s20, s20, 1
	s_addc_u32 s21, s21, 0
	v_or_b32_e32 v22, v4, v22
	s_cmp_lg_u32 s28, 0
	v_or_b32_e32 v23, v5, v23
	s_cbranch_scc1 .LBB4_1075
	s_branch .LBB4_1078
.LBB4_1076:                             ;   in Loop: Header=BB4_1025 Depth=1
	s_branch .LBB4_1079
.LBB4_1077:                             ;   in Loop: Header=BB4_1025 Depth=1
	v_mov_b64_e32 v[22:23], 0
.LBB4_1078:                             ;   in Loop: Header=BB4_1025 Depth=1
	s_cbranch_execnz .LBB4_1080
.LBB4_1079:                             ;   in Loop: Header=BB4_1025 Depth=1
	global_load_dwordx2 v[22:23], v31, s[0:1]
.LBB4_1080:                             ;   in Loop: Header=BB4_1025 Depth=1
	v_readfirstlane_b32 s0, v37
	s_waitcnt vmcnt(0)
	v_mov_b64_e32 v[4:5], 0
	v_cmp_eq_u32_e64 s[0:1], s0, v37
	s_and_saveexec_b64 s[18:19], s[0:1]
	s_cbranch_execz .LBB4_1086
; %bb.1081:                             ;   in Loop: Header=BB4_1025 Depth=1
	global_load_dwordx2 v[26:27], v31, s[24:25] offset:24 sc0 sc1
	s_waitcnt vmcnt(0)
	buffer_inv sc0 sc1
	global_load_dwordx2 v[4:5], v31, s[24:25] offset:40
	global_load_dwordx2 v[8:9], v31, s[24:25]
	s_waitcnt vmcnt(1)
	v_and_b32_e32 v4, v4, v26
	v_and_b32_e32 v5, v5, v27
	v_mul_lo_u32 v5, v5, 24
	v_mul_hi_u32 v24, v4, 24
	v_add_u32_e32 v5, v24, v5
	v_mul_lo_u32 v4, v4, 24
	s_waitcnt vmcnt(0)
	v_lshl_add_u64 v[4:5], v[8:9], 0, v[4:5]
	global_load_dwordx2 v[24:25], v[4:5], off sc0 sc1
	s_waitcnt vmcnt(0)
	global_atomic_cmpswap_x2 v[4:5], v31, v[24:27], s[24:25] offset:24 sc0 sc1
	s_waitcnt vmcnt(0)
	buffer_inv sc0 sc1
	v_cmp_ne_u64_e32 vcc, v[4:5], v[26:27]
	s_and_saveexec_b64 s[20:21], vcc
	s_cbranch_execz .LBB4_1085
; %bb.1082:                             ;   in Loop: Header=BB4_1025 Depth=1
	s_mov_b64 s[28:29], 0
.LBB4_1083:                             ;   Parent Loop BB4_1025 Depth=1
                                        ; =>  This Inner Loop Header: Depth=2
	s_sleep 1
	global_load_dwordx2 v[8:9], v31, s[24:25] offset:40
	global_load_dwordx2 v[24:25], v31, s[24:25]
	v_mov_b64_e32 v[26:27], v[4:5]
	s_waitcnt vmcnt(1)
	v_and_b32_e32 v4, v8, v26
	s_waitcnt vmcnt(0)
	v_mad_u64_u32 v[4:5], s[30:31], v4, 24, v[24:25]
	v_and_b32_e32 v9, v9, v27
	v_mov_b32_e32 v8, v5
	v_mad_u64_u32 v[8:9], s[30:31], v9, 24, v[8:9]
	v_mov_b32_e32 v5, v8
	global_load_dwordx2 v[24:25], v[4:5], off sc0 sc1
	s_waitcnt vmcnt(0)
	global_atomic_cmpswap_x2 v[4:5], v31, v[24:27], s[24:25] offset:24 sc0 sc1
	s_waitcnt vmcnt(0)
	buffer_inv sc0 sc1
	v_cmp_eq_u64_e32 vcc, v[4:5], v[26:27]
	s_or_b64 s[28:29], vcc, s[28:29]
	s_andn2_b64 exec, exec, s[28:29]
	s_cbranch_execnz .LBB4_1083
; %bb.1084:                             ;   in Loop: Header=BB4_1025 Depth=1
	s_or_b64 exec, exec, s[28:29]
.LBB4_1085:                             ;   in Loop: Header=BB4_1025 Depth=1
	s_or_b64 exec, exec, s[20:21]
.LBB4_1086:                             ;   in Loop: Header=BB4_1025 Depth=1
	s_or_b64 exec, exec, s[18:19]
	global_load_dwordx2 v[8:9], v31, s[24:25] offset:40
	global_load_dwordx4 v[24:27], v31, s[24:25]
	v_readfirstlane_b32 s18, v4
	v_readfirstlane_b32 s19, v5
	s_mov_b64 s[20:21], exec
	s_waitcnt vmcnt(1)
	v_readfirstlane_b32 s28, v8
	v_readfirstlane_b32 s29, v9
	s_and_b64 s[28:29], s[18:19], s[28:29]
	s_mul_i32 s7, s29, 24
	s_mul_hi_u32 s30, s28, 24
	s_add_i32 s31, s30, s7
	s_mul_i32 s30, s28, 24
	s_waitcnt vmcnt(0)
	v_lshl_add_u64 v[32:33], v[24:25], 0, s[30:31]
	s_and_saveexec_b64 s[30:31], s[0:1]
	s_cbranch_execz .LBB4_1088
; %bb.1087:                             ;   in Loop: Header=BB4_1025 Depth=1
	v_mov_b64_e32 v[4:5], s[20:21]
	global_store_dwordx4 v[32:33], v[4:7], off offset:8
.LBB4_1088:                             ;   in Loop: Header=BB4_1025 Depth=1
	s_or_b64 exec, exec, s[30:31]
	s_nop 0
	v_or_b32_e32 v5, v2, v28
	v_cmp_gt_u64_e64 vcc, s[14:15], 56
	s_lshl_b32 s7, s16, 2
	s_lshl_b64 s[20:21], s[28:29], 12
	v_cndmask_b32_e32 v2, v5, v2, vcc
	s_add_i32 s7, s7, 28
	v_lshl_add_u64 v[26:27], v[26:27], 0, s[20:21]
	v_or_b32_e32 v4, 0, v3
	s_and_b32 s7, s7, 0x1e0
	v_and_b32_e32 v2, 0xffffff1f, v2
	v_cndmask_b32_e32 v9, v4, v3, vcc
	v_or_b32_e32 v8, s7, v2
	v_readfirstlane_b32 s20, v26
	v_readfirstlane_b32 s21, v27
	s_nop 4
	global_store_dwordx4 v38, v[8:11], s[20:21]
	global_store_dwordx4 v38, v[12:15], s[20:21] offset:16
	global_store_dwordx4 v38, v[16:19], s[20:21] offset:32
	;; [unrolled: 1-line block ×3, first 2 shown]
	s_and_saveexec_b64 s[20:21], s[0:1]
	s_cbranch_execz .LBB4_1096
; %bb.1089:                             ;   in Loop: Header=BB4_1025 Depth=1
	global_load_dwordx2 v[12:13], v31, s[24:25] offset:32 sc0 sc1
	global_load_dwordx2 v[2:3], v31, s[24:25] offset:40
	v_mov_b32_e32 v10, s18
	v_mov_b32_e32 v11, s19
	s_waitcnt vmcnt(0)
	v_readfirstlane_b32 s28, v2
	v_readfirstlane_b32 s29, v3
	s_and_b64 s[28:29], s[28:29], s[18:19]
	s_mul_i32 s7, s29, 24
	s_mul_hi_u32 s29, s28, 24
	s_mul_i32 s28, s28, 24
	s_add_i32 s29, s29, s7
	v_lshl_add_u64 v[8:9], v[24:25], 0, s[28:29]
	global_store_dwordx2 v[8:9], v[12:13], off
	buffer_wbl2 sc0 sc1
	s_waitcnt vmcnt(0)
	global_atomic_cmpswap_x2 v[4:5], v31, v[10:13], s[24:25] offset:32 sc0 sc1
	s_waitcnt vmcnt(0)
	v_cmp_ne_u64_e32 vcc, v[4:5], v[12:13]
	s_and_saveexec_b64 s[28:29], vcc
	s_cbranch_execz .LBB4_1092
; %bb.1090:                             ;   in Loop: Header=BB4_1025 Depth=1
	s_mov_b64 s[30:31], 0
.LBB4_1091:                             ;   Parent Loop BB4_1025 Depth=1
                                        ; =>  This Inner Loop Header: Depth=2
	s_sleep 1
	global_store_dwordx2 v[8:9], v[4:5], off
	v_mov_b32_e32 v2, s18
	v_mov_b32_e32 v3, s19
	buffer_wbl2 sc0 sc1
	s_waitcnt vmcnt(0)
	global_atomic_cmpswap_x2 v[2:3], v31, v[2:5], s[24:25] offset:32 sc0 sc1
	s_waitcnt vmcnt(0)
	v_cmp_eq_u64_e32 vcc, v[2:3], v[4:5]
	s_or_b64 s[30:31], vcc, s[30:31]
	v_mov_b64_e32 v[4:5], v[2:3]
	s_andn2_b64 exec, exec, s[30:31]
	s_cbranch_execnz .LBB4_1091
.LBB4_1092:                             ;   in Loop: Header=BB4_1025 Depth=1
	s_or_b64 exec, exec, s[28:29]
	global_load_dwordx2 v[2:3], v31, s[24:25] offset:16
	s_mov_b64 s[30:31], exec
	v_mbcnt_lo_u32_b32 v4, s30, 0
	v_mbcnt_hi_u32_b32 v4, s31, v4
	v_cmp_eq_u32_e32 vcc, 0, v4
	s_and_saveexec_b64 s[28:29], vcc
	s_cbranch_execz .LBB4_1094
; %bb.1093:                             ;   in Loop: Header=BB4_1025 Depth=1
	s_bcnt1_i32_b64 s7, s[30:31]
	v_mov_b32_e32 v30, s7
	buffer_wbl2 sc0 sc1
	s_waitcnt vmcnt(0)
	global_atomic_add_x2 v[2:3], v[30:31], off offset:8 sc1
.LBB4_1094:                             ;   in Loop: Header=BB4_1025 Depth=1
	s_or_b64 exec, exec, s[28:29]
	s_waitcnt vmcnt(0)
	global_load_dwordx2 v[4:5], v[2:3], off offset:16
	s_waitcnt vmcnt(0)
	v_cmp_eq_u64_e32 vcc, 0, v[4:5]
	s_cbranch_vccnz .LBB4_1096
; %bb.1095:                             ;   in Loop: Header=BB4_1025 Depth=1
	global_load_dword v30, v[2:3], off offset:24
	s_waitcnt vmcnt(0)
	v_and_b32_e32 v2, 0xffffff, v30
	s_nop 0
	v_readfirstlane_b32 m0, v2
	buffer_wbl2 sc0 sc1
	global_store_dwordx2 v[4:5], v[30:31], off sc0 sc1
	s_sendmsg sendmsg(MSG_INTERRUPT)
.LBB4_1096:                             ;   in Loop: Header=BB4_1025 Depth=1
	s_or_b64 exec, exec, s[20:21]
	v_mov_b32_e32 v39, v31
	v_lshl_add_u64 v[2:3], v[26:27], 0, v[38:39]
	s_branch .LBB4_1100
.LBB4_1097:                             ;   in Loop: Header=BB4_1100 Depth=2
	s_or_b64 exec, exec, s[20:21]
	v_readfirstlane_b32 s7, v4
	s_cmp_eq_u32 s7, 0
	s_cbranch_scc1 .LBB4_1099
; %bb.1098:                             ;   in Loop: Header=BB4_1100 Depth=2
	s_sleep 1
	s_cbranch_execnz .LBB4_1100
	s_branch .LBB4_1102
.LBB4_1099:                             ;   in Loop: Header=BB4_1025 Depth=1
	s_branch .LBB4_1102
.LBB4_1100:                             ;   Parent Loop BB4_1025 Depth=1
                                        ; =>  This Inner Loop Header: Depth=2
	v_mov_b32_e32 v4, 1
	s_and_saveexec_b64 s[20:21], s[0:1]
	s_cbranch_execz .LBB4_1097
; %bb.1101:                             ;   in Loop: Header=BB4_1100 Depth=2
	global_load_dword v4, v[32:33], off offset:20 sc0 sc1
	s_waitcnt vmcnt(0)
	buffer_inv sc0 sc1
	v_and_b32_e32 v4, 1, v4
	s_branch .LBB4_1097
.LBB4_1102:                             ;   in Loop: Header=BB4_1025 Depth=1
	global_load_dwordx4 v[2:5], v[2:3], off
	s_and_saveexec_b64 s[20:21], s[0:1]
	s_cbranch_execz .LBB4_1024
; %bb.1103:                             ;   in Loop: Header=BB4_1025 Depth=1
	global_load_dwordx2 v[4:5], v31, s[24:25] offset:40
	global_load_dwordx2 v[12:13], v31, s[24:25] offset:24 sc0 sc1
	global_load_dwordx2 v[14:15], v31, s[24:25]
	s_waitcnt vmcnt(2)
	v_lshl_add_u64 v[8:9], v[4:5], 0, 1
	v_lshl_add_u64 v[16:17], v[8:9], 0, s[18:19]
	v_cmp_eq_u64_e32 vcc, 0, v[16:17]
	s_waitcnt vmcnt(1)
	v_mov_b32_e32 v10, v12
	v_cndmask_b32_e32 v9, v17, v9, vcc
	v_cndmask_b32_e32 v8, v16, v8, vcc
	v_and_b32_e32 v5, v9, v5
	v_and_b32_e32 v4, v8, v4
	v_mul_lo_u32 v5, v5, 24
	v_mul_hi_u32 v11, v4, 24
	v_mul_lo_u32 v4, v4, 24
	v_add_u32_e32 v5, v11, v5
	s_waitcnt vmcnt(0)
	v_lshl_add_u64 v[4:5], v[14:15], 0, v[4:5]
	global_store_dwordx2 v[4:5], v[12:13], off
	v_mov_b32_e32 v11, v13
	buffer_wbl2 sc0 sc1
	s_waitcnt vmcnt(0)
	global_atomic_cmpswap_x2 v[10:11], v31, v[8:11], s[24:25] offset:24 sc0 sc1
	s_waitcnt vmcnt(0)
	v_cmp_ne_u64_e32 vcc, v[10:11], v[12:13]
	s_and_b64 exec, exec, vcc
	s_cbranch_execz .LBB4_1024
; %bb.1104:                             ;   in Loop: Header=BB4_1025 Depth=1
	s_mov_b64 s[0:1], 0
.LBB4_1105:                             ;   Parent Loop BB4_1025 Depth=1
                                        ; =>  This Inner Loop Header: Depth=2
	s_sleep 1
	global_store_dwordx2 v[4:5], v[10:11], off
	buffer_wbl2 sc0 sc1
	s_waitcnt vmcnt(0)
	global_atomic_cmpswap_x2 v[12:13], v31, v[8:11], s[24:25] offset:24 sc0 sc1
	s_waitcnt vmcnt(0)
	v_cmp_eq_u64_e32 vcc, v[12:13], v[10:11]
	s_or_b64 s[0:1], vcc, s[0:1]
	v_mov_b64_e32 v[10:11], v[12:13]
	s_andn2_b64 exec, exec, s[0:1]
	s_cbranch_execnz .LBB4_1105
	s_branch .LBB4_1024
.LBB4_1106:
	s_branch .LBB4_1134
.LBB4_1107:
                                        ; implicit-def: $vgpr2_vgpr3
	s_cbranch_execz .LBB4_1134
; %bb.1108:
	v_readfirstlane_b32 s0, v37
	s_waitcnt vmcnt(0)
	v_mov_b64_e32 v[2:3], 0
	v_cmp_eq_u32_e64 s[0:1], s0, v37
	s_and_saveexec_b64 s[12:13], s[0:1]
	s_cbranch_execz .LBB4_1114
; %bb.1109:
	v_mov_b32_e32 v4, 0
	global_load_dwordx2 v[8:9], v4, s[24:25] offset:24 sc0 sc1
	s_waitcnt vmcnt(0)
	buffer_inv sc0 sc1
	global_load_dwordx2 v[2:3], v4, s[24:25] offset:40
	global_load_dwordx2 v[6:7], v4, s[24:25]
	s_waitcnt vmcnt(1)
	v_and_b32_e32 v2, v2, v8
	v_and_b32_e32 v3, v3, v9
	v_mul_lo_u32 v3, v3, 24
	v_mul_hi_u32 v5, v2, 24
	v_add_u32_e32 v3, v5, v3
	v_mul_lo_u32 v2, v2, 24
	s_waitcnt vmcnt(0)
	v_lshl_add_u64 v[2:3], v[6:7], 0, v[2:3]
	global_load_dwordx2 v[6:7], v[2:3], off sc0 sc1
	s_waitcnt vmcnt(0)
	global_atomic_cmpswap_x2 v[2:3], v4, v[6:9], s[24:25] offset:24 sc0 sc1
	s_waitcnt vmcnt(0)
	buffer_inv sc0 sc1
	v_cmp_ne_u64_e32 vcc, v[2:3], v[8:9]
	s_and_saveexec_b64 s[14:15], vcc
	s_cbranch_execz .LBB4_1113
; %bb.1110:
	s_mov_b64 s[16:17], 0
.LBB4_1111:                             ; =>This Inner Loop Header: Depth=1
	s_sleep 1
	global_load_dwordx2 v[6:7], v4, s[24:25] offset:40
	global_load_dwordx2 v[10:11], v4, s[24:25]
	v_mov_b64_e32 v[8:9], v[2:3]
	s_waitcnt vmcnt(1)
	v_and_b32_e32 v2, v6, v8
	s_waitcnt vmcnt(0)
	v_mad_u64_u32 v[2:3], s[18:19], v2, 24, v[10:11]
	v_and_b32_e32 v5, v7, v9
	v_mov_b32_e32 v6, v3
	v_mad_u64_u32 v[6:7], s[18:19], v5, 24, v[6:7]
	v_mov_b32_e32 v3, v6
	global_load_dwordx2 v[6:7], v[2:3], off sc0 sc1
	s_waitcnt vmcnt(0)
	global_atomic_cmpswap_x2 v[2:3], v4, v[6:9], s[24:25] offset:24 sc0 sc1
	s_waitcnt vmcnt(0)
	buffer_inv sc0 sc1
	v_cmp_eq_u64_e32 vcc, v[2:3], v[8:9]
	s_or_b64 s[16:17], vcc, s[16:17]
	s_andn2_b64 exec, exec, s[16:17]
	s_cbranch_execnz .LBB4_1111
; %bb.1112:
	s_or_b64 exec, exec, s[16:17]
.LBB4_1113:
	s_or_b64 exec, exec, s[14:15]
.LBB4_1114:
	s_or_b64 exec, exec, s[12:13]
	v_mov_b32_e32 v39, 0
	global_load_dwordx2 v[8:9], v39, s[24:25] offset:40
	global_load_dwordx4 v[4:7], v39, s[24:25]
	v_readfirstlane_b32 s12, v2
	v_readfirstlane_b32 s13, v3
	s_mov_b64 s[14:15], exec
	s_waitcnt vmcnt(1)
	v_readfirstlane_b32 s16, v8
	v_readfirstlane_b32 s17, v9
	s_and_b64 s[16:17], s[12:13], s[16:17]
	s_mul_i32 s7, s17, 24
	s_mul_hi_u32 s18, s16, 24
	s_add_i32 s19, s18, s7
	s_mul_i32 s18, s16, 24
	s_waitcnt vmcnt(0)
	v_lshl_add_u64 v[8:9], v[4:5], 0, s[18:19]
	s_and_saveexec_b64 s[18:19], s[0:1]
	s_cbranch_execz .LBB4_1116
; %bb.1115:
	v_mov_b64_e32 v[10:11], s[14:15]
	v_mov_b32_e32 v12, 2
	v_mov_b32_e32 v13, 1
	global_store_dwordx4 v[8:9], v[10:13], off offset:8
.LBB4_1116:
	s_or_b64 exec, exec, s[18:19]
	s_lshl_b64 s[14:15], s[16:17], 12
	v_lshl_add_u64 v[6:7], v[6:7], 0, s[14:15]
	s_movk_i32 s7, 0xff1f
	s_mov_b32 s16, 0
	v_and_or_b32 v0, v0, s7, 32
	v_mov_b32_e32 v2, v39
	v_mov_b32_e32 v3, v39
	v_readfirstlane_b32 s14, v6
	v_readfirstlane_b32 s15, v7
	s_mov_b32 s17, s16
	s_mov_b32 s18, s16
	;; [unrolled: 1-line block ×3, first 2 shown]
	s_nop 1
	global_store_dwordx4 v38, v[0:3], s[14:15]
	s_nop 1
	v_mov_b64_e32 v[0:1], s[16:17]
	v_mov_b64_e32 v[2:3], s[18:19]
	global_store_dwordx4 v38, v[0:3], s[14:15] offset:16
	global_store_dwordx4 v38, v[0:3], s[14:15] offset:32
	;; [unrolled: 1-line block ×3, first 2 shown]
	s_and_saveexec_b64 s[14:15], s[0:1]
	s_cbranch_execz .LBB4_1124
; %bb.1117:
	v_mov_b32_e32 v10, 0
	global_load_dwordx2 v[14:15], v10, s[24:25] offset:32 sc0 sc1
	global_load_dwordx2 v[0:1], v10, s[24:25] offset:40
	v_mov_b32_e32 v12, s12
	v_mov_b32_e32 v13, s13
	s_waitcnt vmcnt(0)
	v_readfirstlane_b32 s16, v0
	v_readfirstlane_b32 s17, v1
	s_and_b64 s[16:17], s[16:17], s[12:13]
	s_mul_i32 s7, s17, 24
	s_mul_hi_u32 s17, s16, 24
	s_mul_i32 s16, s16, 24
	s_add_i32 s17, s17, s7
	v_lshl_add_u64 v[4:5], v[4:5], 0, s[16:17]
	global_store_dwordx2 v[4:5], v[14:15], off
	buffer_wbl2 sc0 sc1
	s_waitcnt vmcnt(0)
	global_atomic_cmpswap_x2 v[2:3], v10, v[12:15], s[24:25] offset:32 sc0 sc1
	s_waitcnt vmcnt(0)
	v_cmp_ne_u64_e32 vcc, v[2:3], v[14:15]
	s_and_saveexec_b64 s[16:17], vcc
	s_cbranch_execz .LBB4_1120
; %bb.1118:
	s_mov_b64 s[18:19], 0
.LBB4_1119:                             ; =>This Inner Loop Header: Depth=1
	s_sleep 1
	global_store_dwordx2 v[4:5], v[2:3], off
	v_mov_b32_e32 v0, s12
	v_mov_b32_e32 v1, s13
	buffer_wbl2 sc0 sc1
	s_waitcnt vmcnt(0)
	global_atomic_cmpswap_x2 v[0:1], v10, v[0:3], s[24:25] offset:32 sc0 sc1
	s_waitcnt vmcnt(0)
	v_cmp_eq_u64_e32 vcc, v[0:1], v[2:3]
	s_or_b64 s[18:19], vcc, s[18:19]
	v_mov_b64_e32 v[2:3], v[0:1]
	s_andn2_b64 exec, exec, s[18:19]
	s_cbranch_execnz .LBB4_1119
.LBB4_1120:
	s_or_b64 exec, exec, s[16:17]
	v_mov_b32_e32 v3, 0
	global_load_dwordx2 v[0:1], v3, s[24:25] offset:16
	s_mov_b64 s[16:17], exec
	v_mbcnt_lo_u32_b32 v2, s16, 0
	v_mbcnt_hi_u32_b32 v2, s17, v2
	v_cmp_eq_u32_e32 vcc, 0, v2
	s_and_saveexec_b64 s[18:19], vcc
	s_cbranch_execz .LBB4_1122
; %bb.1121:
	s_bcnt1_i32_b64 s7, s[16:17]
	v_mov_b32_e32 v2, s7
	buffer_wbl2 sc0 sc1
	s_waitcnt vmcnt(0)
	global_atomic_add_x2 v[0:1], v[2:3], off offset:8 sc1
.LBB4_1122:
	s_or_b64 exec, exec, s[18:19]
	s_waitcnt vmcnt(0)
	global_load_dwordx2 v[2:3], v[0:1], off offset:16
	s_waitcnt vmcnt(0)
	v_cmp_eq_u64_e32 vcc, 0, v[2:3]
	s_cbranch_vccnz .LBB4_1124
; %bb.1123:
	global_load_dword v0, v[0:1], off offset:24
	v_mov_b32_e32 v1, 0
	buffer_wbl2 sc0 sc1
	s_waitcnt vmcnt(0)
	global_store_dwordx2 v[2:3], v[0:1], off sc0 sc1
	v_and_b32_e32 v0, 0xffffff, v0
	s_nop 0
	v_readfirstlane_b32 m0, v0
	s_sendmsg sendmsg(MSG_INTERRUPT)
.LBB4_1124:
	s_or_b64 exec, exec, s[14:15]
	v_lshl_add_u64 v[0:1], v[6:7], 0, v[38:39]
	s_branch .LBB4_1128
.LBB4_1125:                             ;   in Loop: Header=BB4_1128 Depth=1
	s_or_b64 exec, exec, s[14:15]
	v_readfirstlane_b32 s7, v2
	s_cmp_eq_u32 s7, 0
	s_cbranch_scc1 .LBB4_1127
; %bb.1126:                             ;   in Loop: Header=BB4_1128 Depth=1
	s_sleep 1
	s_cbranch_execnz .LBB4_1128
	s_branch .LBB4_1130
.LBB4_1127:
	s_branch .LBB4_1130
.LBB4_1128:                             ; =>This Inner Loop Header: Depth=1
	v_mov_b32_e32 v2, 1
	s_and_saveexec_b64 s[14:15], s[0:1]
	s_cbranch_execz .LBB4_1125
; %bb.1129:                             ;   in Loop: Header=BB4_1128 Depth=1
	global_load_dword v2, v[8:9], off offset:20 sc0 sc1
	s_waitcnt vmcnt(0)
	buffer_inv sc0 sc1
	v_and_b32_e32 v2, 1, v2
	s_branch .LBB4_1125
.LBB4_1130:
	global_load_dwordx2 v[2:3], v[0:1], off
	s_and_saveexec_b64 s[14:15], s[0:1]
	s_cbranch_execz .LBB4_1133
; %bb.1131:
	v_mov_b32_e32 v8, 0
	global_load_dwordx2 v[0:1], v8, s[24:25] offset:40
	global_load_dwordx2 v[10:11], v8, s[24:25] offset:24 sc0 sc1
	global_load_dwordx2 v[12:13], v8, s[24:25]
	s_mov_b64 s[0:1], 0
	s_waitcnt vmcnt(2)
	v_lshl_add_u64 v[4:5], v[0:1], 0, 1
	v_lshl_add_u64 v[14:15], v[4:5], 0, s[12:13]
	v_cmp_eq_u64_e32 vcc, 0, v[14:15]
	s_waitcnt vmcnt(1)
	v_mov_b32_e32 v6, v10
	v_cndmask_b32_e32 v5, v15, v5, vcc
	v_cndmask_b32_e32 v4, v14, v4, vcc
	v_and_b32_e32 v1, v5, v1
	v_and_b32_e32 v0, v4, v0
	v_mul_lo_u32 v1, v1, 24
	v_mul_hi_u32 v7, v0, 24
	v_mul_lo_u32 v0, v0, 24
	v_add_u32_e32 v1, v7, v1
	s_waitcnt vmcnt(0)
	v_lshl_add_u64 v[0:1], v[12:13], 0, v[0:1]
	global_store_dwordx2 v[0:1], v[10:11], off
	v_mov_b32_e32 v7, v11
	buffer_wbl2 sc0 sc1
	s_waitcnt vmcnt(0)
	global_atomic_cmpswap_x2 v[6:7], v8, v[4:7], s[24:25] offset:24 sc0 sc1
	s_waitcnt vmcnt(0)
	v_cmp_ne_u64_e32 vcc, v[6:7], v[10:11]
	s_and_b64 exec, exec, vcc
	s_cbranch_execz .LBB4_1133
.LBB4_1132:                             ; =>This Inner Loop Header: Depth=1
	s_sleep 1
	global_store_dwordx2 v[0:1], v[6:7], off
	buffer_wbl2 sc0 sc1
	s_waitcnt vmcnt(0)
	global_atomic_cmpswap_x2 v[10:11], v8, v[4:7], s[24:25] offset:24 sc0 sc1
	s_waitcnt vmcnt(0)
	v_cmp_eq_u64_e32 vcc, v[10:11], v[6:7]
	s_or_b64 s[0:1], vcc, s[0:1]
	v_mov_b64_e32 v[6:7], v[10:11]
	s_andn2_b64 exec, exec, s[0:1]
	s_cbranch_execnz .LBB4_1132
.LBB4_1133:
	s_or_b64 exec, exec, s[14:15]
.LBB4_1134:
	v_readfirstlane_b32 s0, v37
	s_waitcnt vmcnt(0)
	v_mov_b64_e32 v[0:1], 0
	v_cmp_eq_u32_e64 s[0:1], s0, v37
	s_and_saveexec_b64 s[12:13], s[0:1]
	s_cbranch_execz .LBB4_1140
; %bb.1135:
	v_mov_b32_e32 v4, 0
	global_load_dwordx2 v[8:9], v4, s[24:25] offset:24 sc0 sc1
	s_waitcnt vmcnt(0)
	buffer_inv sc0 sc1
	global_load_dwordx2 v[0:1], v4, s[24:25] offset:40
	global_load_dwordx2 v[6:7], v4, s[24:25]
	s_waitcnt vmcnt(1)
	v_and_b32_e32 v0, v0, v8
	v_and_b32_e32 v1, v1, v9
	v_mul_lo_u32 v1, v1, 24
	v_mul_hi_u32 v5, v0, 24
	v_add_u32_e32 v1, v5, v1
	v_mul_lo_u32 v0, v0, 24
	s_waitcnt vmcnt(0)
	v_lshl_add_u64 v[0:1], v[6:7], 0, v[0:1]
	global_load_dwordx2 v[6:7], v[0:1], off sc0 sc1
	s_waitcnt vmcnt(0)
	global_atomic_cmpswap_x2 v[0:1], v4, v[6:9], s[24:25] offset:24 sc0 sc1
	s_waitcnt vmcnt(0)
	buffer_inv sc0 sc1
	v_cmp_ne_u64_e32 vcc, v[0:1], v[8:9]
	s_and_saveexec_b64 s[14:15], vcc
	s_cbranch_execz .LBB4_1139
; %bb.1136:
	s_mov_b64 s[16:17], 0
.LBB4_1137:                             ; =>This Inner Loop Header: Depth=1
	s_sleep 1
	global_load_dwordx2 v[6:7], v4, s[24:25] offset:40
	global_load_dwordx2 v[10:11], v4, s[24:25]
	v_mov_b64_e32 v[8:9], v[0:1]
	s_waitcnt vmcnt(1)
	v_and_b32_e32 v0, v6, v8
	s_waitcnt vmcnt(0)
	v_mad_u64_u32 v[0:1], s[18:19], v0, 24, v[10:11]
	v_and_b32_e32 v5, v7, v9
	v_mov_b32_e32 v6, v1
	v_mad_u64_u32 v[6:7], s[18:19], v5, 24, v[6:7]
	v_mov_b32_e32 v1, v6
	global_load_dwordx2 v[6:7], v[0:1], off sc0 sc1
	s_waitcnt vmcnt(0)
	global_atomic_cmpswap_x2 v[0:1], v4, v[6:9], s[24:25] offset:24 sc0 sc1
	s_waitcnt vmcnt(0)
	buffer_inv sc0 sc1
	v_cmp_eq_u64_e32 vcc, v[0:1], v[8:9]
	s_or_b64 s[16:17], vcc, s[16:17]
	s_andn2_b64 exec, exec, s[16:17]
	s_cbranch_execnz .LBB4_1137
; %bb.1138:
	s_or_b64 exec, exec, s[16:17]
.LBB4_1139:
	s_or_b64 exec, exec, s[14:15]
.LBB4_1140:
	s_or_b64 exec, exec, s[12:13]
	v_mov_b32_e32 v5, 0
	global_load_dwordx2 v[10:11], v5, s[24:25] offset:40
	global_load_dwordx4 v[6:9], v5, s[24:25]
	v_readfirstlane_b32 s12, v0
	v_readfirstlane_b32 s13, v1
	s_mov_b64 s[14:15], exec
	s_waitcnt vmcnt(1)
	v_readfirstlane_b32 s16, v10
	v_readfirstlane_b32 s17, v11
	s_and_b64 s[16:17], s[12:13], s[16:17]
	s_mul_i32 s7, s17, 24
	s_mul_hi_u32 s18, s16, 24
	s_add_i32 s19, s18, s7
	s_mul_i32 s18, s16, 24
	s_waitcnt vmcnt(0)
	v_lshl_add_u64 v[10:11], v[6:7], 0, s[18:19]
	s_and_saveexec_b64 s[18:19], s[0:1]
	s_cbranch_execz .LBB4_1142
; %bb.1141:
	v_mov_b64_e32 v[12:13], s[14:15]
	v_mov_b32_e32 v14, 2
	v_mov_b32_e32 v15, 1
	global_store_dwordx4 v[10:11], v[12:15], off offset:8
.LBB4_1142:
	s_or_b64 exec, exec, s[18:19]
	s_lshl_b64 s[14:15], s[16:17], 12
	v_lshl_add_u64 v[0:1], v[8:9], 0, s[14:15]
	s_movk_i32 s7, 0xff1d
	s_mov_b32 s16, 0
	v_and_or_b32 v2, v2, s7, 34
	v_mov_b32_e32 v4, 58
	v_readfirstlane_b32 s14, v0
	v_readfirstlane_b32 s15, v1
	s_mov_b32 s17, s16
	s_mov_b32 s18, s16
	;; [unrolled: 1-line block ×3, first 2 shown]
	s_nop 1
	global_store_dwordx4 v38, v[2:5], s[14:15]
	v_mov_b64_e32 v[0:1], s[16:17]
	s_nop 0
	v_mov_b64_e32 v[2:3], s[18:19]
	global_store_dwordx4 v38, v[0:3], s[14:15] offset:16
	global_store_dwordx4 v38, v[0:3], s[14:15] offset:32
	;; [unrolled: 1-line block ×3, first 2 shown]
	s_and_saveexec_b64 s[14:15], s[0:1]
	s_cbranch_execz .LBB4_1150
; %bb.1143:
	v_mov_b32_e32 v8, 0
	global_load_dwordx2 v[14:15], v8, s[24:25] offset:32 sc0 sc1
	global_load_dwordx2 v[0:1], v8, s[24:25] offset:40
	v_mov_b32_e32 v12, s12
	v_mov_b32_e32 v13, s13
	s_waitcnt vmcnt(0)
	v_readfirstlane_b32 s16, v0
	v_readfirstlane_b32 s17, v1
	s_and_b64 s[16:17], s[16:17], s[12:13]
	s_mul_i32 s7, s17, 24
	s_mul_hi_u32 s17, s16, 24
	s_mul_i32 s16, s16, 24
	s_add_i32 s17, s17, s7
	v_lshl_add_u64 v[4:5], v[6:7], 0, s[16:17]
	global_store_dwordx2 v[4:5], v[14:15], off
	buffer_wbl2 sc0 sc1
	s_waitcnt vmcnt(0)
	global_atomic_cmpswap_x2 v[2:3], v8, v[12:15], s[24:25] offset:32 sc0 sc1
	s_waitcnt vmcnt(0)
	v_cmp_ne_u64_e32 vcc, v[2:3], v[14:15]
	s_and_saveexec_b64 s[16:17], vcc
	s_cbranch_execz .LBB4_1146
; %bb.1144:
	s_mov_b64 s[18:19], 0
.LBB4_1145:                             ; =>This Inner Loop Header: Depth=1
	s_sleep 1
	global_store_dwordx2 v[4:5], v[2:3], off
	v_mov_b32_e32 v0, s12
	v_mov_b32_e32 v1, s13
	buffer_wbl2 sc0 sc1
	s_waitcnt vmcnt(0)
	global_atomic_cmpswap_x2 v[0:1], v8, v[0:3], s[24:25] offset:32 sc0 sc1
	s_waitcnt vmcnt(0)
	v_cmp_eq_u64_e32 vcc, v[0:1], v[2:3]
	s_or_b64 s[18:19], vcc, s[18:19]
	v_mov_b64_e32 v[2:3], v[0:1]
	s_andn2_b64 exec, exec, s[18:19]
	s_cbranch_execnz .LBB4_1145
.LBB4_1146:
	s_or_b64 exec, exec, s[16:17]
	v_mov_b32_e32 v3, 0
	global_load_dwordx2 v[0:1], v3, s[24:25] offset:16
	s_mov_b64 s[16:17], exec
	v_mbcnt_lo_u32_b32 v2, s16, 0
	v_mbcnt_hi_u32_b32 v2, s17, v2
	v_cmp_eq_u32_e32 vcc, 0, v2
	s_and_saveexec_b64 s[18:19], vcc
	s_cbranch_execz .LBB4_1148
; %bb.1147:
	s_bcnt1_i32_b64 s7, s[16:17]
	v_mov_b32_e32 v2, s7
	buffer_wbl2 sc0 sc1
	s_waitcnt vmcnt(0)
	global_atomic_add_x2 v[0:1], v[2:3], off offset:8 sc1
.LBB4_1148:
	s_or_b64 exec, exec, s[18:19]
	s_waitcnt vmcnt(0)
	global_load_dwordx2 v[2:3], v[0:1], off offset:16
	s_waitcnt vmcnt(0)
	v_cmp_eq_u64_e32 vcc, 0, v[2:3]
	s_cbranch_vccnz .LBB4_1150
; %bb.1149:
	global_load_dword v0, v[0:1], off offset:24
	v_mov_b32_e32 v1, 0
	buffer_wbl2 sc0 sc1
	s_waitcnt vmcnt(0)
	global_store_dwordx2 v[2:3], v[0:1], off sc0 sc1
	v_and_b32_e32 v0, 0xffffff, v0
	s_nop 0
	v_readfirstlane_b32 m0, v0
	s_sendmsg sendmsg(MSG_INTERRUPT)
.LBB4_1150:
	s_or_b64 exec, exec, s[14:15]
	s_branch .LBB4_1154
.LBB4_1151:                             ;   in Loop: Header=BB4_1154 Depth=1
	s_or_b64 exec, exec, s[14:15]
	v_readfirstlane_b32 s7, v0
	s_cmp_eq_u32 s7, 0
	s_cbranch_scc1 .LBB4_1153
; %bb.1152:                             ;   in Loop: Header=BB4_1154 Depth=1
	s_sleep 1
	s_cbranch_execnz .LBB4_1154
	s_branch .LBB4_1156
.LBB4_1153:
	s_branch .LBB4_1156
.LBB4_1154:                             ; =>This Inner Loop Header: Depth=1
	v_mov_b32_e32 v0, 1
	s_and_saveexec_b64 s[14:15], s[0:1]
	s_cbranch_execz .LBB4_1151
; %bb.1155:                             ;   in Loop: Header=BB4_1154 Depth=1
	global_load_dword v0, v[10:11], off offset:20 sc0 sc1
	s_waitcnt vmcnt(0)
	buffer_inv sc0 sc1
	v_and_b32_e32 v0, 1, v0
	s_branch .LBB4_1151
.LBB4_1156:
	s_and_saveexec_b64 s[14:15], s[0:1]
	s_cbranch_execz .LBB4_1159
; %bb.1157:
	v_mov_b32_e32 v6, 0
	global_load_dwordx2 v[4:5], v6, s[24:25] offset:40
	global_load_dwordx2 v[8:9], v6, s[24:25] offset:24 sc0 sc1
	global_load_dwordx2 v[10:11], v6, s[24:25]
	s_mov_b64 s[0:1], 0
	s_waitcnt vmcnt(2)
	v_lshl_add_u64 v[0:1], v[4:5], 0, 1
	v_lshl_add_u64 v[12:13], v[0:1], 0, s[12:13]
	v_cmp_eq_u64_e32 vcc, 0, v[12:13]
	s_waitcnt vmcnt(1)
	v_mov_b32_e32 v2, v8
	v_cndmask_b32_e32 v1, v13, v1, vcc
	v_cndmask_b32_e32 v0, v12, v0, vcc
	v_and_b32_e32 v3, v1, v5
	v_and_b32_e32 v4, v0, v4
	v_mul_lo_u32 v3, v3, 24
	v_mul_hi_u32 v5, v4, 24
	v_mul_lo_u32 v4, v4, 24
	v_add_u32_e32 v5, v5, v3
	s_waitcnt vmcnt(0)
	v_lshl_add_u64 v[4:5], v[10:11], 0, v[4:5]
	global_store_dwordx2 v[4:5], v[8:9], off
	v_mov_b32_e32 v3, v9
	buffer_wbl2 sc0 sc1
	s_waitcnt vmcnt(0)
	global_atomic_cmpswap_x2 v[2:3], v6, v[0:3], s[24:25] offset:24 sc0 sc1
	s_waitcnt vmcnt(0)
	v_cmp_ne_u64_e32 vcc, v[2:3], v[8:9]
	s_and_b64 exec, exec, vcc
	s_cbranch_execz .LBB4_1159
.LBB4_1158:                             ; =>This Inner Loop Header: Depth=1
	s_sleep 1
	global_store_dwordx2 v[4:5], v[2:3], off
	buffer_wbl2 sc0 sc1
	s_waitcnt vmcnt(0)
	global_atomic_cmpswap_x2 v[8:9], v6, v[0:3], s[24:25] offset:24 sc0 sc1
	s_waitcnt vmcnt(0)
	v_cmp_eq_u64_e32 vcc, v[8:9], v[2:3]
	s_or_b64 s[0:1], vcc, s[0:1]
	v_mov_b64_e32 v[2:3], v[8:9]
	s_andn2_b64 exec, exec, s[0:1]
	s_cbranch_execnz .LBB4_1158
.LBB4_1159:
	s_or_b64 exec, exec, s[14:15]
	v_readfirstlane_b32 s0, v37
	v_mov_b64_e32 v[4:5], 0
	s_nop 0
	v_cmp_eq_u32_e64 s[0:1], s0, v37
	s_and_saveexec_b64 s[12:13], s[0:1]
	s_cbranch_execz .LBB4_1165
; %bb.1160:
	v_mov_b32_e32 v0, 0
	global_load_dwordx2 v[6:7], v0, s[24:25] offset:24 sc0 sc1
	s_waitcnt vmcnt(0)
	buffer_inv sc0 sc1
	global_load_dwordx2 v[2:3], v0, s[24:25] offset:40
	global_load_dwordx2 v[4:5], v0, s[24:25]
	s_waitcnt vmcnt(1)
	v_and_b32_e32 v1, v2, v6
	v_and_b32_e32 v2, v3, v7
	v_mul_lo_u32 v2, v2, 24
	v_mul_hi_u32 v3, v1, 24
	v_add_u32_e32 v3, v3, v2
	v_mul_lo_u32 v2, v1, 24
	s_waitcnt vmcnt(0)
	v_lshl_add_u64 v[2:3], v[4:5], 0, v[2:3]
	global_load_dwordx2 v[4:5], v[2:3], off sc0 sc1
	s_waitcnt vmcnt(0)
	global_atomic_cmpswap_x2 v[4:5], v0, v[4:7], s[24:25] offset:24 sc0 sc1
	s_waitcnt vmcnt(0)
	buffer_inv sc0 sc1
	v_cmp_ne_u64_e32 vcc, v[4:5], v[6:7]
	s_and_saveexec_b64 s[14:15], vcc
	s_cbranch_execz .LBB4_1164
; %bb.1161:
	s_mov_b64 s[16:17], 0
.LBB4_1162:                             ; =>This Inner Loop Header: Depth=1
	s_sleep 1
	global_load_dwordx2 v[2:3], v0, s[24:25] offset:40
	global_load_dwordx2 v[8:9], v0, s[24:25]
	v_mov_b64_e32 v[6:7], v[4:5]
	s_waitcnt vmcnt(1)
	v_and_b32_e32 v2, v2, v6
	v_and_b32_e32 v1, v3, v7
	s_waitcnt vmcnt(0)
	v_mad_u64_u32 v[2:3], s[18:19], v2, 24, v[8:9]
	v_mov_b32_e32 v4, v3
	v_mad_u64_u32 v[4:5], s[18:19], v1, 24, v[4:5]
	v_mov_b32_e32 v3, v4
	global_load_dwordx2 v[4:5], v[2:3], off sc0 sc1
	s_waitcnt vmcnt(0)
	global_atomic_cmpswap_x2 v[4:5], v0, v[4:7], s[24:25] offset:24 sc0 sc1
	s_waitcnt vmcnt(0)
	buffer_inv sc0 sc1
	v_cmp_eq_u64_e32 vcc, v[4:5], v[6:7]
	s_or_b64 s[16:17], vcc, s[16:17]
	s_andn2_b64 exec, exec, s[16:17]
	s_cbranch_execnz .LBB4_1162
; %bb.1163:
	s_or_b64 exec, exec, s[16:17]
.LBB4_1164:
	s_or_b64 exec, exec, s[14:15]
.LBB4_1165:
	s_or_b64 exec, exec, s[12:13]
	v_mov_b32_e32 v39, 0
	global_load_dwordx2 v[6:7], v39, s[24:25] offset:40
	global_load_dwordx4 v[0:3], v39, s[24:25]
	v_readfirstlane_b32 s12, v4
	v_readfirstlane_b32 s13, v5
	s_mov_b64 s[14:15], exec
	s_waitcnt vmcnt(1)
	v_readfirstlane_b32 s16, v6
	v_readfirstlane_b32 s17, v7
	s_and_b64 s[16:17], s[12:13], s[16:17]
	s_mul_i32 s7, s17, 24
	s_mul_hi_u32 s18, s16, 24
	s_add_i32 s19, s18, s7
	s_mul_i32 s18, s16, 24
	s_waitcnt vmcnt(0)
	v_lshl_add_u64 v[4:5], v[0:1], 0, s[18:19]
	s_and_saveexec_b64 s[18:19], s[0:1]
	s_cbranch_execz .LBB4_1167
; %bb.1166:
	v_mov_b64_e32 v[6:7], s[14:15]
	v_mov_b32_e32 v8, 2
	v_mov_b32_e32 v9, 1
	global_store_dwordx4 v[4:5], v[6:9], off offset:8
.LBB4_1167:
	s_or_b64 exec, exec, s[18:19]
	s_lshl_b64 s[14:15], s[16:17], 12
	v_lshl_add_u64 v[6:7], v[2:3], 0, s[14:15]
	s_mov_b32 s16, 0
	v_mov_b32_e32 v8, 33
	v_mov_b32_e32 v9, v39
	;; [unrolled: 1-line block ×4, first 2 shown]
	v_readfirstlane_b32 s14, v6
	v_readfirstlane_b32 s15, v7
	s_mov_b32 s17, s16
	s_mov_b32 s18, s16
	;; [unrolled: 1-line block ×3, first 2 shown]
	s_nop 1
	global_store_dwordx4 v38, v[8:11], s[14:15]
	s_nop 1
	v_mov_b64_e32 v[8:9], s[16:17]
	v_mov_b64_e32 v[10:11], s[18:19]
	global_store_dwordx4 v38, v[8:11], s[14:15] offset:16
	global_store_dwordx4 v38, v[8:11], s[14:15] offset:32
	;; [unrolled: 1-line block ×3, first 2 shown]
	s_and_saveexec_b64 s[14:15], s[0:1]
	s_cbranch_execz .LBB4_1175
; %bb.1168:
	v_mov_b32_e32 v10, 0
	global_load_dwordx2 v[14:15], v10, s[24:25] offset:32 sc0 sc1
	global_load_dwordx2 v[2:3], v10, s[24:25] offset:40
	v_mov_b32_e32 v12, s12
	v_mov_b32_e32 v13, s13
	s_waitcnt vmcnt(0)
	v_readfirstlane_b32 s16, v2
	v_readfirstlane_b32 s17, v3
	s_and_b64 s[16:17], s[16:17], s[12:13]
	s_mul_i32 s7, s17, 24
	s_mul_hi_u32 s17, s16, 24
	s_mul_i32 s16, s16, 24
	s_add_i32 s17, s17, s7
	v_lshl_add_u64 v[8:9], v[0:1], 0, s[16:17]
	global_store_dwordx2 v[8:9], v[14:15], off
	buffer_wbl2 sc0 sc1
	s_waitcnt vmcnt(0)
	global_atomic_cmpswap_x2 v[2:3], v10, v[12:15], s[24:25] offset:32 sc0 sc1
	s_waitcnt vmcnt(0)
	v_cmp_ne_u64_e32 vcc, v[2:3], v[14:15]
	s_and_saveexec_b64 s[16:17], vcc
	s_cbranch_execz .LBB4_1171
; %bb.1169:
	s_mov_b64 s[18:19], 0
.LBB4_1170:                             ; =>This Inner Loop Header: Depth=1
	s_sleep 1
	global_store_dwordx2 v[8:9], v[2:3], off
	v_mov_b32_e32 v0, s12
	v_mov_b32_e32 v1, s13
	buffer_wbl2 sc0 sc1
	s_waitcnt vmcnt(0)
	global_atomic_cmpswap_x2 v[0:1], v10, v[0:3], s[24:25] offset:32 sc0 sc1
	s_waitcnt vmcnt(0)
	v_cmp_eq_u64_e32 vcc, v[0:1], v[2:3]
	s_or_b64 s[18:19], vcc, s[18:19]
	v_mov_b64_e32 v[2:3], v[0:1]
	s_andn2_b64 exec, exec, s[18:19]
	s_cbranch_execnz .LBB4_1170
.LBB4_1171:
	s_or_b64 exec, exec, s[16:17]
	v_mov_b32_e32 v3, 0
	global_load_dwordx2 v[0:1], v3, s[24:25] offset:16
	s_mov_b64 s[16:17], exec
	v_mbcnt_lo_u32_b32 v2, s16, 0
	v_mbcnt_hi_u32_b32 v2, s17, v2
	v_cmp_eq_u32_e32 vcc, 0, v2
	s_and_saveexec_b64 s[18:19], vcc
	s_cbranch_execz .LBB4_1173
; %bb.1172:
	s_bcnt1_i32_b64 s7, s[16:17]
	v_mov_b32_e32 v2, s7
	buffer_wbl2 sc0 sc1
	s_waitcnt vmcnt(0)
	global_atomic_add_x2 v[0:1], v[2:3], off offset:8 sc1
.LBB4_1173:
	s_or_b64 exec, exec, s[18:19]
	s_waitcnt vmcnt(0)
	global_load_dwordx2 v[2:3], v[0:1], off offset:16
	s_waitcnt vmcnt(0)
	v_cmp_eq_u64_e32 vcc, 0, v[2:3]
	s_cbranch_vccnz .LBB4_1175
; %bb.1174:
	global_load_dword v0, v[0:1], off offset:24
	v_mov_b32_e32 v1, 0
	buffer_wbl2 sc0 sc1
	s_waitcnt vmcnt(0)
	global_store_dwordx2 v[2:3], v[0:1], off sc0 sc1
	v_and_b32_e32 v0, 0xffffff, v0
	s_nop 0
	v_readfirstlane_b32 m0, v0
	s_sendmsg sendmsg(MSG_INTERRUPT)
.LBB4_1175:
	s_or_b64 exec, exec, s[14:15]
	v_lshl_add_u64 v[0:1], v[6:7], 0, v[38:39]
	s_branch .LBB4_1179
.LBB4_1176:                             ;   in Loop: Header=BB4_1179 Depth=1
	s_or_b64 exec, exec, s[14:15]
	v_readfirstlane_b32 s7, v2
	s_cmp_eq_u32 s7, 0
	s_cbranch_scc1 .LBB4_1178
; %bb.1177:                             ;   in Loop: Header=BB4_1179 Depth=1
	s_sleep 1
	s_cbranch_execnz .LBB4_1179
	s_branch .LBB4_1181
.LBB4_1178:
	s_branch .LBB4_1181
.LBB4_1179:                             ; =>This Inner Loop Header: Depth=1
	v_mov_b32_e32 v2, 1
	s_and_saveexec_b64 s[14:15], s[0:1]
	s_cbranch_execz .LBB4_1176
; %bb.1180:                             ;   in Loop: Header=BB4_1179 Depth=1
	global_load_dword v2, v[4:5], off offset:20 sc0 sc1
	s_waitcnt vmcnt(0)
	buffer_inv sc0 sc1
	v_and_b32_e32 v2, 1, v2
	s_branch .LBB4_1176
.LBB4_1181:
	global_load_dwordx2 v[0:1], v[0:1], off
	s_and_saveexec_b64 s[14:15], s[0:1]
	s_cbranch_execz .LBB4_1184
; %bb.1182:
	v_mov_b32_e32 v8, 0
	global_load_dwordx2 v[6:7], v8, s[24:25] offset:40
	global_load_dwordx2 v[10:11], v8, s[24:25] offset:24 sc0 sc1
	global_load_dwordx2 v[12:13], v8, s[24:25]
	s_mov_b64 s[0:1], 0
	s_waitcnt vmcnt(2)
	v_lshl_add_u64 v[2:3], v[6:7], 0, 1
	v_lshl_add_u64 v[14:15], v[2:3], 0, s[12:13]
	v_cmp_eq_u64_e32 vcc, 0, v[14:15]
	s_waitcnt vmcnt(1)
	v_mov_b32_e32 v4, v10
	v_cndmask_b32_e32 v3, v15, v3, vcc
	v_cndmask_b32_e32 v2, v14, v2, vcc
	v_and_b32_e32 v5, v3, v7
	v_and_b32_e32 v6, v2, v6
	v_mul_lo_u32 v5, v5, 24
	v_mul_hi_u32 v7, v6, 24
	v_mul_lo_u32 v6, v6, 24
	v_add_u32_e32 v7, v7, v5
	s_waitcnt vmcnt(0)
	v_lshl_add_u64 v[6:7], v[12:13], 0, v[6:7]
	global_store_dwordx2 v[6:7], v[10:11], off
	v_mov_b32_e32 v5, v11
	buffer_wbl2 sc0 sc1
	s_waitcnt vmcnt(0)
	global_atomic_cmpswap_x2 v[4:5], v8, v[2:5], s[24:25] offset:24 sc0 sc1
	s_waitcnt vmcnt(0)
	v_cmp_ne_u64_e32 vcc, v[4:5], v[10:11]
	s_and_b64 exec, exec, vcc
	s_cbranch_execz .LBB4_1184
.LBB4_1183:                             ; =>This Inner Loop Header: Depth=1
	s_sleep 1
	global_store_dwordx2 v[6:7], v[4:5], off
	buffer_wbl2 sc0 sc1
	s_waitcnt vmcnt(0)
	global_atomic_cmpswap_x2 v[10:11], v8, v[2:5], s[24:25] offset:24 sc0 sc1
	s_waitcnt vmcnt(0)
	v_cmp_eq_u64_e32 vcc, v[10:11], v[4:5]
	s_or_b64 s[0:1], vcc, s[0:1]
	v_mov_b64_e32 v[4:5], v[10:11]
	s_andn2_b64 exec, exec, s[0:1]
	s_cbranch_execnz .LBB4_1183
.LBB4_1184:
	s_or_b64 exec, exec, s[14:15]
	s_and_b64 vcc, exec, s[26:27]
	s_cbranch_vccz .LBB4_1269
; %bb.1185:
	s_waitcnt vmcnt(0)
	v_and_b32_e32 v28, 2, v0
	v_mov_b32_e32 v31, 0
	v_and_b32_e32 v2, -3, v0
	v_mov_b32_e32 v3, v1
	s_mov_b64 s[14:15], 3
	v_mov_b32_e32 v6, 2
	v_mov_b32_e32 v7, 1
	s_getpc_b64 s[12:13]
	s_add_u32 s12, s12, .str.6@rel32@lo+4
	s_addc_u32 s13, s13, .str.6@rel32@hi+12
	s_branch .LBB4_1187
.LBB4_1186:                             ;   in Loop: Header=BB4_1187 Depth=1
	s_or_b64 exec, exec, s[20:21]
	s_sub_u32 s14, s14, s16
	s_subb_u32 s15, s15, s17
	s_add_u32 s12, s12, s16
	s_addc_u32 s13, s13, s17
	s_cmp_lg_u64 s[14:15], 0
	s_cbranch_scc0 .LBB4_1268
.LBB4_1187:                             ; =>This Loop Header: Depth=1
                                        ;     Child Loop BB4_1190 Depth 2
                                        ;     Child Loop BB4_1197 Depth 2
	;; [unrolled: 1-line block ×11, first 2 shown]
	v_cmp_lt_u64_e64 s[0:1], s[14:15], 56
	s_and_b64 s[0:1], s[0:1], exec
	v_cmp_gt_u64_e64 s[0:1], s[14:15], 7
	s_cselect_b32 s17, s15, 0
	s_cselect_b32 s16, s14, 56
	s_and_b64 vcc, exec, s[0:1]
	s_cbranch_vccnz .LBB4_1192
; %bb.1188:                             ;   in Loop: Header=BB4_1187 Depth=1
	s_mov_b64 s[0:1], 0
	s_cmp_eq_u64 s[14:15], 0
	v_mov_b64_e32 v[10:11], 0
	s_cbranch_scc1 .LBB4_1191
; %bb.1189:                             ;   in Loop: Header=BB4_1187 Depth=1
	s_lshl_b64 s[18:19], s[16:17], 3
	s_mov_b64 s[20:21], 0
	v_mov_b64_e32 v[10:11], 0
	s_mov_b64 s[28:29], s[12:13]
.LBB4_1190:                             ;   Parent Loop BB4_1187 Depth=1
                                        ; =>  This Inner Loop Header: Depth=2
	global_load_ubyte v4, v31, s[28:29]
	s_waitcnt vmcnt(0)
	v_and_b32_e32 v30, 0xffff, v4
	v_lshlrev_b64 v[4:5], s20, v[30:31]
	s_add_u32 s20, s20, 8
	s_addc_u32 s21, s21, 0
	s_add_u32 s28, s28, 1
	s_addc_u32 s29, s29, 0
	v_or_b32_e32 v10, v4, v10
	s_cmp_lg_u32 s18, s20
	v_or_b32_e32 v11, v5, v11
	s_cbranch_scc1 .LBB4_1190
.LBB4_1191:                             ;   in Loop: Header=BB4_1187 Depth=1
	s_mov_b32 s7, 0
	s_andn2_b64 vcc, exec, s[0:1]
	s_mov_b64 s[0:1], s[12:13]
	s_cbranch_vccz .LBB4_1193
	s_branch .LBB4_1194
.LBB4_1192:                             ;   in Loop: Header=BB4_1187 Depth=1
                                        ; implicit-def: $vgpr10_vgpr11
                                        ; implicit-def: $sgpr7
	s_mov_b64 s[0:1], s[12:13]
.LBB4_1193:                             ;   in Loop: Header=BB4_1187 Depth=1
	global_load_dwordx2 v[10:11], v31, s[12:13]
	s_add_i32 s7, s16, -8
	s_add_u32 s0, s12, 8
	s_addc_u32 s1, s13, 0
.LBB4_1194:                             ;   in Loop: Header=BB4_1187 Depth=1
	s_cmp_gt_u32 s7, 7
	s_cbranch_scc1 .LBB4_1198
; %bb.1195:                             ;   in Loop: Header=BB4_1187 Depth=1
	s_cmp_eq_u32 s7, 0
	s_cbranch_scc1 .LBB4_1199
; %bb.1196:                             ;   in Loop: Header=BB4_1187 Depth=1
	s_mov_b64 s[18:19], 0
	v_mov_b64_e32 v[12:13], 0
	s_mov_b64 s[20:21], 0
.LBB4_1197:                             ;   Parent Loop BB4_1187 Depth=1
                                        ; =>  This Inner Loop Header: Depth=2
	s_add_u32 s28, s0, s20
	s_addc_u32 s29, s1, s21
	global_load_ubyte v4, v31, s[28:29]
	s_add_u32 s20, s20, 1
	s_addc_u32 s21, s21, 0
	s_waitcnt vmcnt(0)
	v_and_b32_e32 v30, 0xffff, v4
	v_lshlrev_b64 v[4:5], s18, v[30:31]
	s_add_u32 s18, s18, 8
	s_addc_u32 s19, s19, 0
	v_or_b32_e32 v12, v4, v12
	s_cmp_lg_u32 s7, s20
	v_or_b32_e32 v13, v5, v13
	s_cbranch_scc1 .LBB4_1197
	s_branch .LBB4_1200
.LBB4_1198:                             ;   in Loop: Header=BB4_1187 Depth=1
                                        ; implicit-def: $vgpr12_vgpr13
                                        ; implicit-def: $sgpr28
	s_branch .LBB4_1201
.LBB4_1199:                             ;   in Loop: Header=BB4_1187 Depth=1
	v_mov_b64_e32 v[12:13], 0
.LBB4_1200:                             ;   in Loop: Header=BB4_1187 Depth=1
	s_mov_b32 s28, 0
	s_cbranch_execnz .LBB4_1202
.LBB4_1201:                             ;   in Loop: Header=BB4_1187 Depth=1
	global_load_dwordx2 v[12:13], v31, s[0:1]
	s_add_i32 s28, s7, -8
	s_add_u32 s0, s0, 8
	s_addc_u32 s1, s1, 0
.LBB4_1202:                             ;   in Loop: Header=BB4_1187 Depth=1
	s_cmp_gt_u32 s28, 7
	s_cbranch_scc1 .LBB4_1206
; %bb.1203:                             ;   in Loop: Header=BB4_1187 Depth=1
	s_cmp_eq_u32 s28, 0
	s_cbranch_scc1 .LBB4_1207
; %bb.1204:                             ;   in Loop: Header=BB4_1187 Depth=1
	s_mov_b64 s[18:19], 0
	v_mov_b64_e32 v[14:15], 0
	s_mov_b64 s[20:21], 0
.LBB4_1205:                             ;   Parent Loop BB4_1187 Depth=1
                                        ; =>  This Inner Loop Header: Depth=2
	s_add_u32 s30, s0, s20
	s_addc_u32 s31, s1, s21
	global_load_ubyte v4, v31, s[30:31]
	s_add_u32 s20, s20, 1
	s_addc_u32 s21, s21, 0
	s_waitcnt vmcnt(0)
	v_and_b32_e32 v30, 0xffff, v4
	v_lshlrev_b64 v[4:5], s18, v[30:31]
	s_add_u32 s18, s18, 8
	s_addc_u32 s19, s19, 0
	v_or_b32_e32 v14, v4, v14
	s_cmp_lg_u32 s28, s20
	v_or_b32_e32 v15, v5, v15
	s_cbranch_scc1 .LBB4_1205
	s_branch .LBB4_1208
.LBB4_1206:                             ;   in Loop: Header=BB4_1187 Depth=1
                                        ; implicit-def: $sgpr7
	s_branch .LBB4_1209
.LBB4_1207:                             ;   in Loop: Header=BB4_1187 Depth=1
	v_mov_b64_e32 v[14:15], 0
.LBB4_1208:                             ;   in Loop: Header=BB4_1187 Depth=1
	s_mov_b32 s7, 0
	s_cbranch_execnz .LBB4_1210
.LBB4_1209:                             ;   in Loop: Header=BB4_1187 Depth=1
	global_load_dwordx2 v[14:15], v31, s[0:1]
	s_add_i32 s7, s28, -8
	s_add_u32 s0, s0, 8
	s_addc_u32 s1, s1, 0
.LBB4_1210:                             ;   in Loop: Header=BB4_1187 Depth=1
	s_cmp_gt_u32 s7, 7
	s_cbranch_scc1 .LBB4_1214
; %bb.1211:                             ;   in Loop: Header=BB4_1187 Depth=1
	s_cmp_eq_u32 s7, 0
	s_cbranch_scc1 .LBB4_1215
; %bb.1212:                             ;   in Loop: Header=BB4_1187 Depth=1
	s_mov_b64 s[18:19], 0
	v_mov_b64_e32 v[16:17], 0
	s_mov_b64 s[20:21], 0
.LBB4_1213:                             ;   Parent Loop BB4_1187 Depth=1
                                        ; =>  This Inner Loop Header: Depth=2
	s_add_u32 s28, s0, s20
	s_addc_u32 s29, s1, s21
	global_load_ubyte v4, v31, s[28:29]
	s_add_u32 s20, s20, 1
	s_addc_u32 s21, s21, 0
	s_waitcnt vmcnt(0)
	v_and_b32_e32 v30, 0xffff, v4
	v_lshlrev_b64 v[4:5], s18, v[30:31]
	s_add_u32 s18, s18, 8
	s_addc_u32 s19, s19, 0
	v_or_b32_e32 v16, v4, v16
	s_cmp_lg_u32 s7, s20
	v_or_b32_e32 v17, v5, v17
	s_cbranch_scc1 .LBB4_1213
	s_branch .LBB4_1216
.LBB4_1214:                             ;   in Loop: Header=BB4_1187 Depth=1
                                        ; implicit-def: $vgpr16_vgpr17
                                        ; implicit-def: $sgpr28
	s_branch .LBB4_1217
.LBB4_1215:                             ;   in Loop: Header=BB4_1187 Depth=1
	v_mov_b64_e32 v[16:17], 0
.LBB4_1216:                             ;   in Loop: Header=BB4_1187 Depth=1
	s_mov_b32 s28, 0
	s_cbranch_execnz .LBB4_1218
.LBB4_1217:                             ;   in Loop: Header=BB4_1187 Depth=1
	global_load_dwordx2 v[16:17], v31, s[0:1]
	s_add_i32 s28, s7, -8
	s_add_u32 s0, s0, 8
	s_addc_u32 s1, s1, 0
.LBB4_1218:                             ;   in Loop: Header=BB4_1187 Depth=1
	s_cmp_gt_u32 s28, 7
	s_cbranch_scc1 .LBB4_1222
; %bb.1219:                             ;   in Loop: Header=BB4_1187 Depth=1
	s_cmp_eq_u32 s28, 0
	s_cbranch_scc1 .LBB4_1223
; %bb.1220:                             ;   in Loop: Header=BB4_1187 Depth=1
	s_mov_b64 s[18:19], 0
	v_mov_b64_e32 v[18:19], 0
	s_mov_b64 s[20:21], 0
.LBB4_1221:                             ;   Parent Loop BB4_1187 Depth=1
                                        ; =>  This Inner Loop Header: Depth=2
	s_add_u32 s30, s0, s20
	s_addc_u32 s31, s1, s21
	global_load_ubyte v4, v31, s[30:31]
	s_add_u32 s20, s20, 1
	s_addc_u32 s21, s21, 0
	s_waitcnt vmcnt(0)
	v_and_b32_e32 v30, 0xffff, v4
	v_lshlrev_b64 v[4:5], s18, v[30:31]
	s_add_u32 s18, s18, 8
	s_addc_u32 s19, s19, 0
	v_or_b32_e32 v18, v4, v18
	s_cmp_lg_u32 s28, s20
	v_or_b32_e32 v19, v5, v19
	s_cbranch_scc1 .LBB4_1221
	s_branch .LBB4_1224
.LBB4_1222:                             ;   in Loop: Header=BB4_1187 Depth=1
                                        ; implicit-def: $sgpr7
	s_branch .LBB4_1225
.LBB4_1223:                             ;   in Loop: Header=BB4_1187 Depth=1
	v_mov_b64_e32 v[18:19], 0
.LBB4_1224:                             ;   in Loop: Header=BB4_1187 Depth=1
	s_mov_b32 s7, 0
	s_cbranch_execnz .LBB4_1226
.LBB4_1225:                             ;   in Loop: Header=BB4_1187 Depth=1
	global_load_dwordx2 v[18:19], v31, s[0:1]
	s_add_i32 s7, s28, -8
	s_add_u32 s0, s0, 8
	s_addc_u32 s1, s1, 0
.LBB4_1226:                             ;   in Loop: Header=BB4_1187 Depth=1
	s_cmp_gt_u32 s7, 7
	s_cbranch_scc1 .LBB4_1230
; %bb.1227:                             ;   in Loop: Header=BB4_1187 Depth=1
	s_cmp_eq_u32 s7, 0
	s_cbranch_scc1 .LBB4_1231
; %bb.1228:                             ;   in Loop: Header=BB4_1187 Depth=1
	s_mov_b64 s[18:19], 0
	v_mov_b64_e32 v[20:21], 0
	s_mov_b64 s[20:21], 0
.LBB4_1229:                             ;   Parent Loop BB4_1187 Depth=1
                                        ; =>  This Inner Loop Header: Depth=2
	s_add_u32 s28, s0, s20
	s_addc_u32 s29, s1, s21
	global_load_ubyte v4, v31, s[28:29]
	s_add_u32 s20, s20, 1
	s_addc_u32 s21, s21, 0
	s_waitcnt vmcnt(0)
	v_and_b32_e32 v30, 0xffff, v4
	v_lshlrev_b64 v[4:5], s18, v[30:31]
	s_add_u32 s18, s18, 8
	s_addc_u32 s19, s19, 0
	v_or_b32_e32 v20, v4, v20
	s_cmp_lg_u32 s7, s20
	v_or_b32_e32 v21, v5, v21
	s_cbranch_scc1 .LBB4_1229
	s_branch .LBB4_1232
.LBB4_1230:                             ;   in Loop: Header=BB4_1187 Depth=1
                                        ; implicit-def: $vgpr20_vgpr21
                                        ; implicit-def: $sgpr28
	s_branch .LBB4_1233
.LBB4_1231:                             ;   in Loop: Header=BB4_1187 Depth=1
	v_mov_b64_e32 v[20:21], 0
.LBB4_1232:                             ;   in Loop: Header=BB4_1187 Depth=1
	s_mov_b32 s28, 0
	s_cbranch_execnz .LBB4_1234
.LBB4_1233:                             ;   in Loop: Header=BB4_1187 Depth=1
	global_load_dwordx2 v[20:21], v31, s[0:1]
	s_add_i32 s28, s7, -8
	s_add_u32 s0, s0, 8
	s_addc_u32 s1, s1, 0
.LBB4_1234:                             ;   in Loop: Header=BB4_1187 Depth=1
	s_cmp_gt_u32 s28, 7
	s_cbranch_scc1 .LBB4_1238
; %bb.1235:                             ;   in Loop: Header=BB4_1187 Depth=1
	s_cmp_eq_u32 s28, 0
	s_cbranch_scc1 .LBB4_1239
; %bb.1236:                             ;   in Loop: Header=BB4_1187 Depth=1
	s_mov_b64 s[18:19], 0
	v_mov_b64_e32 v[22:23], 0
	s_mov_b64 s[20:21], s[0:1]
.LBB4_1237:                             ;   Parent Loop BB4_1187 Depth=1
                                        ; =>  This Inner Loop Header: Depth=2
	global_load_ubyte v4, v31, s[20:21]
	s_add_i32 s28, s28, -1
	s_waitcnt vmcnt(0)
	v_and_b32_e32 v30, 0xffff, v4
	v_lshlrev_b64 v[4:5], s18, v[30:31]
	s_add_u32 s18, s18, 8
	s_addc_u32 s19, s19, 0
	s_add_u32 s20, s20, 1
	s_addc_u32 s21, s21, 0
	v_or_b32_e32 v22, v4, v22
	s_cmp_lg_u32 s28, 0
	v_or_b32_e32 v23, v5, v23
	s_cbranch_scc1 .LBB4_1237
	s_branch .LBB4_1240
.LBB4_1238:                             ;   in Loop: Header=BB4_1187 Depth=1
	s_branch .LBB4_1241
.LBB4_1239:                             ;   in Loop: Header=BB4_1187 Depth=1
	v_mov_b64_e32 v[22:23], 0
.LBB4_1240:                             ;   in Loop: Header=BB4_1187 Depth=1
	s_cbranch_execnz .LBB4_1242
.LBB4_1241:                             ;   in Loop: Header=BB4_1187 Depth=1
	global_load_dwordx2 v[22:23], v31, s[0:1]
.LBB4_1242:                             ;   in Loop: Header=BB4_1187 Depth=1
	v_readfirstlane_b32 s0, v37
	s_waitcnt vmcnt(0)
	v_mov_b64_e32 v[4:5], 0
	v_cmp_eq_u32_e64 s[0:1], s0, v37
	s_and_saveexec_b64 s[18:19], s[0:1]
	s_cbranch_execz .LBB4_1248
; %bb.1243:                             ;   in Loop: Header=BB4_1187 Depth=1
	global_load_dwordx2 v[26:27], v31, s[24:25] offset:24 sc0 sc1
	s_waitcnt vmcnt(0)
	buffer_inv sc0 sc1
	global_load_dwordx2 v[4:5], v31, s[24:25] offset:40
	global_load_dwordx2 v[8:9], v31, s[24:25]
	s_waitcnt vmcnt(1)
	v_and_b32_e32 v4, v4, v26
	v_and_b32_e32 v5, v5, v27
	v_mul_lo_u32 v5, v5, 24
	v_mul_hi_u32 v24, v4, 24
	v_add_u32_e32 v5, v24, v5
	v_mul_lo_u32 v4, v4, 24
	s_waitcnt vmcnt(0)
	v_lshl_add_u64 v[4:5], v[8:9], 0, v[4:5]
	global_load_dwordx2 v[24:25], v[4:5], off sc0 sc1
	s_waitcnt vmcnt(0)
	global_atomic_cmpswap_x2 v[4:5], v31, v[24:27], s[24:25] offset:24 sc0 sc1
	s_waitcnt vmcnt(0)
	buffer_inv sc0 sc1
	v_cmp_ne_u64_e32 vcc, v[4:5], v[26:27]
	s_and_saveexec_b64 s[20:21], vcc
	s_cbranch_execz .LBB4_1247
; %bb.1244:                             ;   in Loop: Header=BB4_1187 Depth=1
	s_mov_b64 s[28:29], 0
.LBB4_1245:                             ;   Parent Loop BB4_1187 Depth=1
                                        ; =>  This Inner Loop Header: Depth=2
	s_sleep 1
	global_load_dwordx2 v[8:9], v31, s[24:25] offset:40
	global_load_dwordx2 v[24:25], v31, s[24:25]
	v_mov_b64_e32 v[26:27], v[4:5]
	s_waitcnt vmcnt(1)
	v_and_b32_e32 v4, v8, v26
	s_waitcnt vmcnt(0)
	v_mad_u64_u32 v[4:5], s[30:31], v4, 24, v[24:25]
	v_and_b32_e32 v9, v9, v27
	v_mov_b32_e32 v8, v5
	v_mad_u64_u32 v[8:9], s[30:31], v9, 24, v[8:9]
	v_mov_b32_e32 v5, v8
	global_load_dwordx2 v[24:25], v[4:5], off sc0 sc1
	s_waitcnt vmcnt(0)
	global_atomic_cmpswap_x2 v[4:5], v31, v[24:27], s[24:25] offset:24 sc0 sc1
	s_waitcnt vmcnt(0)
	buffer_inv sc0 sc1
	v_cmp_eq_u64_e32 vcc, v[4:5], v[26:27]
	s_or_b64 s[28:29], vcc, s[28:29]
	s_andn2_b64 exec, exec, s[28:29]
	s_cbranch_execnz .LBB4_1245
; %bb.1246:                             ;   in Loop: Header=BB4_1187 Depth=1
	s_or_b64 exec, exec, s[28:29]
.LBB4_1247:                             ;   in Loop: Header=BB4_1187 Depth=1
	s_or_b64 exec, exec, s[20:21]
.LBB4_1248:                             ;   in Loop: Header=BB4_1187 Depth=1
	s_or_b64 exec, exec, s[18:19]
	global_load_dwordx2 v[8:9], v31, s[24:25] offset:40
	global_load_dwordx4 v[24:27], v31, s[24:25]
	v_readfirstlane_b32 s18, v4
	v_readfirstlane_b32 s19, v5
	s_mov_b64 s[20:21], exec
	s_waitcnt vmcnt(1)
	v_readfirstlane_b32 s28, v8
	v_readfirstlane_b32 s29, v9
	s_and_b64 s[28:29], s[18:19], s[28:29]
	s_mul_i32 s7, s29, 24
	s_mul_hi_u32 s30, s28, 24
	s_add_i32 s31, s30, s7
	s_mul_i32 s30, s28, 24
	s_waitcnt vmcnt(0)
	v_lshl_add_u64 v[32:33], v[24:25], 0, s[30:31]
	s_and_saveexec_b64 s[30:31], s[0:1]
	s_cbranch_execz .LBB4_1250
; %bb.1249:                             ;   in Loop: Header=BB4_1187 Depth=1
	v_mov_b64_e32 v[4:5], s[20:21]
	global_store_dwordx4 v[32:33], v[4:7], off offset:8
.LBB4_1250:                             ;   in Loop: Header=BB4_1187 Depth=1
	s_or_b64 exec, exec, s[30:31]
	s_nop 0
	v_or_b32_e32 v5, v2, v28
	v_cmp_gt_u64_e64 vcc, s[14:15], 56
	s_lshl_b32 s7, s16, 2
	s_lshl_b64 s[20:21], s[28:29], 12
	v_cndmask_b32_e32 v2, v5, v2, vcc
	s_add_i32 s7, s7, 28
	v_lshl_add_u64 v[26:27], v[26:27], 0, s[20:21]
	v_or_b32_e32 v4, 0, v3
	s_and_b32 s7, s7, 0x1e0
	v_and_b32_e32 v2, 0xffffff1f, v2
	v_cndmask_b32_e32 v9, v4, v3, vcc
	v_or_b32_e32 v8, s7, v2
	v_readfirstlane_b32 s20, v26
	v_readfirstlane_b32 s21, v27
	s_nop 4
	global_store_dwordx4 v38, v[8:11], s[20:21]
	global_store_dwordx4 v38, v[12:15], s[20:21] offset:16
	global_store_dwordx4 v38, v[16:19], s[20:21] offset:32
	;; [unrolled: 1-line block ×3, first 2 shown]
	s_and_saveexec_b64 s[20:21], s[0:1]
	s_cbranch_execz .LBB4_1258
; %bb.1251:                             ;   in Loop: Header=BB4_1187 Depth=1
	global_load_dwordx2 v[12:13], v31, s[24:25] offset:32 sc0 sc1
	global_load_dwordx2 v[2:3], v31, s[24:25] offset:40
	v_mov_b32_e32 v10, s18
	v_mov_b32_e32 v11, s19
	s_waitcnt vmcnt(0)
	v_readfirstlane_b32 s28, v2
	v_readfirstlane_b32 s29, v3
	s_and_b64 s[28:29], s[28:29], s[18:19]
	s_mul_i32 s7, s29, 24
	s_mul_hi_u32 s29, s28, 24
	s_mul_i32 s28, s28, 24
	s_add_i32 s29, s29, s7
	v_lshl_add_u64 v[8:9], v[24:25], 0, s[28:29]
	global_store_dwordx2 v[8:9], v[12:13], off
	buffer_wbl2 sc0 sc1
	s_waitcnt vmcnt(0)
	global_atomic_cmpswap_x2 v[4:5], v31, v[10:13], s[24:25] offset:32 sc0 sc1
	s_waitcnt vmcnt(0)
	v_cmp_ne_u64_e32 vcc, v[4:5], v[12:13]
	s_and_saveexec_b64 s[28:29], vcc
	s_cbranch_execz .LBB4_1254
; %bb.1252:                             ;   in Loop: Header=BB4_1187 Depth=1
	s_mov_b64 s[30:31], 0
.LBB4_1253:                             ;   Parent Loop BB4_1187 Depth=1
                                        ; =>  This Inner Loop Header: Depth=2
	s_sleep 1
	global_store_dwordx2 v[8:9], v[4:5], off
	v_mov_b32_e32 v2, s18
	v_mov_b32_e32 v3, s19
	buffer_wbl2 sc0 sc1
	s_waitcnt vmcnt(0)
	global_atomic_cmpswap_x2 v[2:3], v31, v[2:5], s[24:25] offset:32 sc0 sc1
	s_waitcnt vmcnt(0)
	v_cmp_eq_u64_e32 vcc, v[2:3], v[4:5]
	s_or_b64 s[30:31], vcc, s[30:31]
	v_mov_b64_e32 v[4:5], v[2:3]
	s_andn2_b64 exec, exec, s[30:31]
	s_cbranch_execnz .LBB4_1253
.LBB4_1254:                             ;   in Loop: Header=BB4_1187 Depth=1
	s_or_b64 exec, exec, s[28:29]
	global_load_dwordx2 v[2:3], v31, s[24:25] offset:16
	s_mov_b64 s[30:31], exec
	v_mbcnt_lo_u32_b32 v4, s30, 0
	v_mbcnt_hi_u32_b32 v4, s31, v4
	v_cmp_eq_u32_e32 vcc, 0, v4
	s_and_saveexec_b64 s[28:29], vcc
	s_cbranch_execz .LBB4_1256
; %bb.1255:                             ;   in Loop: Header=BB4_1187 Depth=1
	s_bcnt1_i32_b64 s7, s[30:31]
	v_mov_b32_e32 v30, s7
	buffer_wbl2 sc0 sc1
	s_waitcnt vmcnt(0)
	global_atomic_add_x2 v[2:3], v[30:31], off offset:8 sc1
.LBB4_1256:                             ;   in Loop: Header=BB4_1187 Depth=1
	s_or_b64 exec, exec, s[28:29]
	s_waitcnt vmcnt(0)
	global_load_dwordx2 v[4:5], v[2:3], off offset:16
	s_waitcnt vmcnt(0)
	v_cmp_eq_u64_e32 vcc, 0, v[4:5]
	s_cbranch_vccnz .LBB4_1258
; %bb.1257:                             ;   in Loop: Header=BB4_1187 Depth=1
	global_load_dword v30, v[2:3], off offset:24
	s_waitcnt vmcnt(0)
	v_and_b32_e32 v2, 0xffffff, v30
	s_nop 0
	v_readfirstlane_b32 m0, v2
	buffer_wbl2 sc0 sc1
	global_store_dwordx2 v[4:5], v[30:31], off sc0 sc1
	s_sendmsg sendmsg(MSG_INTERRUPT)
.LBB4_1258:                             ;   in Loop: Header=BB4_1187 Depth=1
	s_or_b64 exec, exec, s[20:21]
	v_mov_b32_e32 v39, v31
	v_lshl_add_u64 v[2:3], v[26:27], 0, v[38:39]
	s_branch .LBB4_1262
.LBB4_1259:                             ;   in Loop: Header=BB4_1262 Depth=2
	s_or_b64 exec, exec, s[20:21]
	v_readfirstlane_b32 s7, v4
	s_cmp_eq_u32 s7, 0
	s_cbranch_scc1 .LBB4_1261
; %bb.1260:                             ;   in Loop: Header=BB4_1262 Depth=2
	s_sleep 1
	s_cbranch_execnz .LBB4_1262
	s_branch .LBB4_1264
.LBB4_1261:                             ;   in Loop: Header=BB4_1187 Depth=1
	s_branch .LBB4_1264
.LBB4_1262:                             ;   Parent Loop BB4_1187 Depth=1
                                        ; =>  This Inner Loop Header: Depth=2
	v_mov_b32_e32 v4, 1
	s_and_saveexec_b64 s[20:21], s[0:1]
	s_cbranch_execz .LBB4_1259
; %bb.1263:                             ;   in Loop: Header=BB4_1262 Depth=2
	global_load_dword v4, v[32:33], off offset:20 sc0 sc1
	s_waitcnt vmcnt(0)
	buffer_inv sc0 sc1
	v_and_b32_e32 v4, 1, v4
	s_branch .LBB4_1259
.LBB4_1264:                             ;   in Loop: Header=BB4_1187 Depth=1
	global_load_dwordx4 v[2:5], v[2:3], off
	s_and_saveexec_b64 s[20:21], s[0:1]
	s_cbranch_execz .LBB4_1186
; %bb.1265:                             ;   in Loop: Header=BB4_1187 Depth=1
	global_load_dwordx2 v[4:5], v31, s[24:25] offset:40
	global_load_dwordx2 v[12:13], v31, s[24:25] offset:24 sc0 sc1
	global_load_dwordx2 v[14:15], v31, s[24:25]
	s_waitcnt vmcnt(2)
	v_lshl_add_u64 v[8:9], v[4:5], 0, 1
	v_lshl_add_u64 v[16:17], v[8:9], 0, s[18:19]
	v_cmp_eq_u64_e32 vcc, 0, v[16:17]
	s_waitcnt vmcnt(1)
	v_mov_b32_e32 v10, v12
	v_cndmask_b32_e32 v9, v17, v9, vcc
	v_cndmask_b32_e32 v8, v16, v8, vcc
	v_and_b32_e32 v5, v9, v5
	v_and_b32_e32 v4, v8, v4
	v_mul_lo_u32 v5, v5, 24
	v_mul_hi_u32 v11, v4, 24
	v_mul_lo_u32 v4, v4, 24
	v_add_u32_e32 v5, v11, v5
	s_waitcnt vmcnt(0)
	v_lshl_add_u64 v[4:5], v[14:15], 0, v[4:5]
	global_store_dwordx2 v[4:5], v[12:13], off
	v_mov_b32_e32 v11, v13
	buffer_wbl2 sc0 sc1
	s_waitcnt vmcnt(0)
	global_atomic_cmpswap_x2 v[10:11], v31, v[8:11], s[24:25] offset:24 sc0 sc1
	s_waitcnt vmcnt(0)
	v_cmp_ne_u64_e32 vcc, v[10:11], v[12:13]
	s_and_b64 exec, exec, vcc
	s_cbranch_execz .LBB4_1186
; %bb.1266:                             ;   in Loop: Header=BB4_1187 Depth=1
	s_mov_b64 s[0:1], 0
.LBB4_1267:                             ;   Parent Loop BB4_1187 Depth=1
                                        ; =>  This Inner Loop Header: Depth=2
	s_sleep 1
	global_store_dwordx2 v[4:5], v[10:11], off
	buffer_wbl2 sc0 sc1
	s_waitcnt vmcnt(0)
	global_atomic_cmpswap_x2 v[12:13], v31, v[8:11], s[24:25] offset:24 sc0 sc1
	s_waitcnt vmcnt(0)
	v_cmp_eq_u64_e32 vcc, v[12:13], v[10:11]
	s_or_b64 s[0:1], vcc, s[0:1]
	v_mov_b64_e32 v[10:11], v[12:13]
	s_andn2_b64 exec, exec, s[0:1]
	s_cbranch_execnz .LBB4_1267
	s_branch .LBB4_1186
.LBB4_1268:
	s_branch .LBB4_1296
.LBB4_1269:
                                        ; implicit-def: $vgpr2_vgpr3
	s_cbranch_execz .LBB4_1296
; %bb.1270:
	v_readfirstlane_b32 s0, v37
	s_waitcnt vmcnt(0)
	v_mov_b64_e32 v[2:3], 0
	v_cmp_eq_u32_e64 s[0:1], s0, v37
	s_and_saveexec_b64 s[12:13], s[0:1]
	s_cbranch_execz .LBB4_1276
; %bb.1271:
	v_mov_b32_e32 v4, 0
	global_load_dwordx2 v[8:9], v4, s[24:25] offset:24 sc0 sc1
	s_waitcnt vmcnt(0)
	buffer_inv sc0 sc1
	global_load_dwordx2 v[2:3], v4, s[24:25] offset:40
	global_load_dwordx2 v[6:7], v4, s[24:25]
	s_waitcnt vmcnt(1)
	v_and_b32_e32 v2, v2, v8
	v_and_b32_e32 v3, v3, v9
	v_mul_lo_u32 v3, v3, 24
	v_mul_hi_u32 v5, v2, 24
	v_add_u32_e32 v3, v5, v3
	v_mul_lo_u32 v2, v2, 24
	s_waitcnt vmcnt(0)
	v_lshl_add_u64 v[2:3], v[6:7], 0, v[2:3]
	global_load_dwordx2 v[6:7], v[2:3], off sc0 sc1
	s_waitcnt vmcnt(0)
	global_atomic_cmpswap_x2 v[2:3], v4, v[6:9], s[24:25] offset:24 sc0 sc1
	s_waitcnt vmcnt(0)
	buffer_inv sc0 sc1
	v_cmp_ne_u64_e32 vcc, v[2:3], v[8:9]
	s_and_saveexec_b64 s[14:15], vcc
	s_cbranch_execz .LBB4_1275
; %bb.1272:
	s_mov_b64 s[16:17], 0
.LBB4_1273:                             ; =>This Inner Loop Header: Depth=1
	s_sleep 1
	global_load_dwordx2 v[6:7], v4, s[24:25] offset:40
	global_load_dwordx2 v[10:11], v4, s[24:25]
	v_mov_b64_e32 v[8:9], v[2:3]
	s_waitcnt vmcnt(1)
	v_and_b32_e32 v2, v6, v8
	s_waitcnt vmcnt(0)
	v_mad_u64_u32 v[2:3], s[18:19], v2, 24, v[10:11]
	v_and_b32_e32 v5, v7, v9
	v_mov_b32_e32 v6, v3
	v_mad_u64_u32 v[6:7], s[18:19], v5, 24, v[6:7]
	v_mov_b32_e32 v3, v6
	global_load_dwordx2 v[6:7], v[2:3], off sc0 sc1
	s_waitcnt vmcnt(0)
	global_atomic_cmpswap_x2 v[2:3], v4, v[6:9], s[24:25] offset:24 sc0 sc1
	s_waitcnt vmcnt(0)
	buffer_inv sc0 sc1
	v_cmp_eq_u64_e32 vcc, v[2:3], v[8:9]
	s_or_b64 s[16:17], vcc, s[16:17]
	s_andn2_b64 exec, exec, s[16:17]
	s_cbranch_execnz .LBB4_1273
; %bb.1274:
	s_or_b64 exec, exec, s[16:17]
.LBB4_1275:
	s_or_b64 exec, exec, s[14:15]
.LBB4_1276:
	s_or_b64 exec, exec, s[12:13]
	v_mov_b32_e32 v39, 0
	global_load_dwordx2 v[8:9], v39, s[24:25] offset:40
	global_load_dwordx4 v[4:7], v39, s[24:25]
	v_readfirstlane_b32 s12, v2
	v_readfirstlane_b32 s13, v3
	s_mov_b64 s[14:15], exec
	s_waitcnt vmcnt(1)
	v_readfirstlane_b32 s16, v8
	v_readfirstlane_b32 s17, v9
	s_and_b64 s[16:17], s[12:13], s[16:17]
	s_mul_i32 s7, s17, 24
	s_mul_hi_u32 s18, s16, 24
	s_add_i32 s19, s18, s7
	s_mul_i32 s18, s16, 24
	s_waitcnt vmcnt(0)
	v_lshl_add_u64 v[8:9], v[4:5], 0, s[18:19]
	s_and_saveexec_b64 s[18:19], s[0:1]
	s_cbranch_execz .LBB4_1278
; %bb.1277:
	v_mov_b64_e32 v[10:11], s[14:15]
	v_mov_b32_e32 v12, 2
	v_mov_b32_e32 v13, 1
	global_store_dwordx4 v[8:9], v[10:13], off offset:8
.LBB4_1278:
	s_or_b64 exec, exec, s[18:19]
	s_lshl_b64 s[14:15], s[16:17], 12
	v_lshl_add_u64 v[6:7], v[6:7], 0, s[14:15]
	s_movk_i32 s7, 0xff1f
	s_mov_b32 s16, 0
	v_and_or_b32 v0, v0, s7, 32
	v_mov_b32_e32 v2, v39
	v_mov_b32_e32 v3, v39
	v_readfirstlane_b32 s14, v6
	v_readfirstlane_b32 s15, v7
	s_mov_b32 s17, s16
	s_mov_b32 s18, s16
	;; [unrolled: 1-line block ×3, first 2 shown]
	s_nop 1
	global_store_dwordx4 v38, v[0:3], s[14:15]
	s_nop 1
	v_mov_b64_e32 v[0:1], s[16:17]
	v_mov_b64_e32 v[2:3], s[18:19]
	global_store_dwordx4 v38, v[0:3], s[14:15] offset:16
	global_store_dwordx4 v38, v[0:3], s[14:15] offset:32
	;; [unrolled: 1-line block ×3, first 2 shown]
	s_and_saveexec_b64 s[14:15], s[0:1]
	s_cbranch_execz .LBB4_1286
; %bb.1279:
	v_mov_b32_e32 v10, 0
	global_load_dwordx2 v[14:15], v10, s[24:25] offset:32 sc0 sc1
	global_load_dwordx2 v[0:1], v10, s[24:25] offset:40
	v_mov_b32_e32 v12, s12
	v_mov_b32_e32 v13, s13
	s_waitcnt vmcnt(0)
	v_readfirstlane_b32 s16, v0
	v_readfirstlane_b32 s17, v1
	s_and_b64 s[16:17], s[16:17], s[12:13]
	s_mul_i32 s7, s17, 24
	s_mul_hi_u32 s17, s16, 24
	s_mul_i32 s16, s16, 24
	s_add_i32 s17, s17, s7
	v_lshl_add_u64 v[4:5], v[4:5], 0, s[16:17]
	global_store_dwordx2 v[4:5], v[14:15], off
	buffer_wbl2 sc0 sc1
	s_waitcnt vmcnt(0)
	global_atomic_cmpswap_x2 v[2:3], v10, v[12:15], s[24:25] offset:32 sc0 sc1
	s_waitcnt vmcnt(0)
	v_cmp_ne_u64_e32 vcc, v[2:3], v[14:15]
	s_and_saveexec_b64 s[16:17], vcc
	s_cbranch_execz .LBB4_1282
; %bb.1280:
	s_mov_b64 s[18:19], 0
.LBB4_1281:                             ; =>This Inner Loop Header: Depth=1
	s_sleep 1
	global_store_dwordx2 v[4:5], v[2:3], off
	v_mov_b32_e32 v0, s12
	v_mov_b32_e32 v1, s13
	buffer_wbl2 sc0 sc1
	s_waitcnt vmcnt(0)
	global_atomic_cmpswap_x2 v[0:1], v10, v[0:3], s[24:25] offset:32 sc0 sc1
	s_waitcnt vmcnt(0)
	v_cmp_eq_u64_e32 vcc, v[0:1], v[2:3]
	s_or_b64 s[18:19], vcc, s[18:19]
	v_mov_b64_e32 v[2:3], v[0:1]
	s_andn2_b64 exec, exec, s[18:19]
	s_cbranch_execnz .LBB4_1281
.LBB4_1282:
	s_or_b64 exec, exec, s[16:17]
	v_mov_b32_e32 v3, 0
	global_load_dwordx2 v[0:1], v3, s[24:25] offset:16
	s_mov_b64 s[16:17], exec
	v_mbcnt_lo_u32_b32 v2, s16, 0
	v_mbcnt_hi_u32_b32 v2, s17, v2
	v_cmp_eq_u32_e32 vcc, 0, v2
	s_and_saveexec_b64 s[18:19], vcc
	s_cbranch_execz .LBB4_1284
; %bb.1283:
	s_bcnt1_i32_b64 s7, s[16:17]
	v_mov_b32_e32 v2, s7
	buffer_wbl2 sc0 sc1
	s_waitcnt vmcnt(0)
	global_atomic_add_x2 v[0:1], v[2:3], off offset:8 sc1
.LBB4_1284:
	s_or_b64 exec, exec, s[18:19]
	s_waitcnt vmcnt(0)
	global_load_dwordx2 v[2:3], v[0:1], off offset:16
	s_waitcnt vmcnt(0)
	v_cmp_eq_u64_e32 vcc, 0, v[2:3]
	s_cbranch_vccnz .LBB4_1286
; %bb.1285:
	global_load_dword v0, v[0:1], off offset:24
	v_mov_b32_e32 v1, 0
	buffer_wbl2 sc0 sc1
	s_waitcnt vmcnt(0)
	global_store_dwordx2 v[2:3], v[0:1], off sc0 sc1
	v_and_b32_e32 v0, 0xffffff, v0
	s_nop 0
	v_readfirstlane_b32 m0, v0
	s_sendmsg sendmsg(MSG_INTERRUPT)
.LBB4_1286:
	s_or_b64 exec, exec, s[14:15]
	v_lshl_add_u64 v[0:1], v[6:7], 0, v[38:39]
	s_branch .LBB4_1290
.LBB4_1287:                             ;   in Loop: Header=BB4_1290 Depth=1
	s_or_b64 exec, exec, s[14:15]
	v_readfirstlane_b32 s7, v2
	s_cmp_eq_u32 s7, 0
	s_cbranch_scc1 .LBB4_1289
; %bb.1288:                             ;   in Loop: Header=BB4_1290 Depth=1
	s_sleep 1
	s_cbranch_execnz .LBB4_1290
	s_branch .LBB4_1292
.LBB4_1289:
	s_branch .LBB4_1292
.LBB4_1290:                             ; =>This Inner Loop Header: Depth=1
	v_mov_b32_e32 v2, 1
	s_and_saveexec_b64 s[14:15], s[0:1]
	s_cbranch_execz .LBB4_1287
; %bb.1291:                             ;   in Loop: Header=BB4_1290 Depth=1
	global_load_dword v2, v[8:9], off offset:20 sc0 sc1
	s_waitcnt vmcnt(0)
	buffer_inv sc0 sc1
	v_and_b32_e32 v2, 1, v2
	s_branch .LBB4_1287
.LBB4_1292:
	global_load_dwordx2 v[2:3], v[0:1], off
	s_and_saveexec_b64 s[14:15], s[0:1]
	s_cbranch_execz .LBB4_1295
; %bb.1293:
	v_mov_b32_e32 v8, 0
	global_load_dwordx2 v[0:1], v8, s[24:25] offset:40
	global_load_dwordx2 v[10:11], v8, s[24:25] offset:24 sc0 sc1
	global_load_dwordx2 v[12:13], v8, s[24:25]
	s_mov_b64 s[0:1], 0
	s_waitcnt vmcnt(2)
	v_lshl_add_u64 v[4:5], v[0:1], 0, 1
	v_lshl_add_u64 v[14:15], v[4:5], 0, s[12:13]
	v_cmp_eq_u64_e32 vcc, 0, v[14:15]
	s_waitcnt vmcnt(1)
	v_mov_b32_e32 v6, v10
	v_cndmask_b32_e32 v5, v15, v5, vcc
	v_cndmask_b32_e32 v4, v14, v4, vcc
	v_and_b32_e32 v1, v5, v1
	v_and_b32_e32 v0, v4, v0
	v_mul_lo_u32 v1, v1, 24
	v_mul_hi_u32 v7, v0, 24
	v_mul_lo_u32 v0, v0, 24
	v_add_u32_e32 v1, v7, v1
	s_waitcnt vmcnt(0)
	v_lshl_add_u64 v[0:1], v[12:13], 0, v[0:1]
	global_store_dwordx2 v[0:1], v[10:11], off
	v_mov_b32_e32 v7, v11
	buffer_wbl2 sc0 sc1
	s_waitcnt vmcnt(0)
	global_atomic_cmpswap_x2 v[6:7], v8, v[4:7], s[24:25] offset:24 sc0 sc1
	s_waitcnt vmcnt(0)
	v_cmp_ne_u64_e32 vcc, v[6:7], v[10:11]
	s_and_b64 exec, exec, vcc
	s_cbranch_execz .LBB4_1295
.LBB4_1294:                             ; =>This Inner Loop Header: Depth=1
	s_sleep 1
	global_store_dwordx2 v[0:1], v[6:7], off
	buffer_wbl2 sc0 sc1
	s_waitcnt vmcnt(0)
	global_atomic_cmpswap_x2 v[10:11], v8, v[4:7], s[24:25] offset:24 sc0 sc1
	s_waitcnt vmcnt(0)
	v_cmp_eq_u64_e32 vcc, v[10:11], v[6:7]
	s_or_b64 s[0:1], vcc, s[0:1]
	v_mov_b64_e32 v[6:7], v[10:11]
	s_andn2_b64 exec, exec, s[0:1]
	s_cbranch_execnz .LBB4_1294
.LBB4_1295:
	s_or_b64 exec, exec, s[14:15]
.LBB4_1296:
	v_readfirstlane_b32 s0, v37
	s_waitcnt vmcnt(0)
	v_mov_b64_e32 v[0:1], 0
	v_cmp_eq_u32_e64 s[0:1], s0, v37
	s_and_saveexec_b64 s[12:13], s[0:1]
	s_cbranch_execz .LBB4_1302
; %bb.1297:
	v_mov_b32_e32 v4, 0
	global_load_dwordx2 v[8:9], v4, s[24:25] offset:24 sc0 sc1
	s_waitcnt vmcnt(0)
	buffer_inv sc0 sc1
	global_load_dwordx2 v[0:1], v4, s[24:25] offset:40
	global_load_dwordx2 v[6:7], v4, s[24:25]
	s_waitcnt vmcnt(1)
	v_and_b32_e32 v0, v0, v8
	v_and_b32_e32 v1, v1, v9
	v_mul_lo_u32 v1, v1, 24
	v_mul_hi_u32 v5, v0, 24
	v_add_u32_e32 v1, v5, v1
	v_mul_lo_u32 v0, v0, 24
	s_waitcnt vmcnt(0)
	v_lshl_add_u64 v[0:1], v[6:7], 0, v[0:1]
	global_load_dwordx2 v[6:7], v[0:1], off sc0 sc1
	s_waitcnt vmcnt(0)
	global_atomic_cmpswap_x2 v[0:1], v4, v[6:9], s[24:25] offset:24 sc0 sc1
	s_waitcnt vmcnt(0)
	buffer_inv sc0 sc1
	v_cmp_ne_u64_e32 vcc, v[0:1], v[8:9]
	s_and_saveexec_b64 s[14:15], vcc
	s_cbranch_execz .LBB4_1301
; %bb.1298:
	s_mov_b64 s[16:17], 0
.LBB4_1299:                             ; =>This Inner Loop Header: Depth=1
	s_sleep 1
	global_load_dwordx2 v[6:7], v4, s[24:25] offset:40
	global_load_dwordx2 v[10:11], v4, s[24:25]
	v_mov_b64_e32 v[8:9], v[0:1]
	s_waitcnt vmcnt(1)
	v_and_b32_e32 v0, v6, v8
	s_waitcnt vmcnt(0)
	v_mad_u64_u32 v[0:1], s[18:19], v0, 24, v[10:11]
	v_and_b32_e32 v5, v7, v9
	v_mov_b32_e32 v6, v1
	v_mad_u64_u32 v[6:7], s[18:19], v5, 24, v[6:7]
	v_mov_b32_e32 v1, v6
	global_load_dwordx2 v[6:7], v[0:1], off sc0 sc1
	s_waitcnt vmcnt(0)
	global_atomic_cmpswap_x2 v[0:1], v4, v[6:9], s[24:25] offset:24 sc0 sc1
	s_waitcnt vmcnt(0)
	buffer_inv sc0 sc1
	v_cmp_eq_u64_e32 vcc, v[0:1], v[8:9]
	s_or_b64 s[16:17], vcc, s[16:17]
	s_andn2_b64 exec, exec, s[16:17]
	s_cbranch_execnz .LBB4_1299
; %bb.1300:
	s_or_b64 exec, exec, s[16:17]
.LBB4_1301:
	s_or_b64 exec, exec, s[14:15]
.LBB4_1302:
	s_or_b64 exec, exec, s[12:13]
	v_mov_b32_e32 v5, 0
	global_load_dwordx2 v[10:11], v5, s[24:25] offset:40
	global_load_dwordx4 v[6:9], v5, s[24:25]
	v_readfirstlane_b32 s12, v0
	v_readfirstlane_b32 s13, v1
	s_mov_b64 s[14:15], exec
	s_waitcnt vmcnt(1)
	v_readfirstlane_b32 s16, v10
	v_readfirstlane_b32 s17, v11
	s_and_b64 s[16:17], s[12:13], s[16:17]
	s_mul_i32 s7, s17, 24
	s_mul_hi_u32 s18, s16, 24
	s_add_i32 s19, s18, s7
	s_mul_i32 s18, s16, 24
	s_waitcnt vmcnt(0)
	v_lshl_add_u64 v[10:11], v[6:7], 0, s[18:19]
	s_and_saveexec_b64 s[18:19], s[0:1]
	s_cbranch_execz .LBB4_1304
; %bb.1303:
	v_mov_b64_e32 v[12:13], s[14:15]
	v_mov_b32_e32 v14, 2
	v_mov_b32_e32 v15, 1
	global_store_dwordx4 v[10:11], v[12:15], off offset:8
.LBB4_1304:
	s_or_b64 exec, exec, s[18:19]
	s_lshl_b64 s[14:15], s[16:17], 12
	v_lshl_add_u64 v[0:1], v[8:9], 0, s[14:15]
	s_movk_i32 s7, 0xff1d
	s_mov_b32 s16, 0
	v_and_or_b32 v2, v2, s7, 34
	v_mov_b32_e32 v4, 10
	v_readfirstlane_b32 s14, v0
	v_readfirstlane_b32 s15, v1
	s_mov_b32 s17, s16
	s_mov_b32 s18, s16
	;; [unrolled: 1-line block ×3, first 2 shown]
	s_nop 1
	global_store_dwordx4 v38, v[2:5], s[14:15]
	v_mov_b64_e32 v[0:1], s[16:17]
	s_nop 0
	v_mov_b64_e32 v[2:3], s[18:19]
	global_store_dwordx4 v38, v[0:3], s[14:15] offset:16
	global_store_dwordx4 v38, v[0:3], s[14:15] offset:32
	;; [unrolled: 1-line block ×3, first 2 shown]
	s_and_saveexec_b64 s[14:15], s[0:1]
	s_cbranch_execz .LBB4_1312
; %bb.1305:
	v_mov_b32_e32 v8, 0
	global_load_dwordx2 v[14:15], v8, s[24:25] offset:32 sc0 sc1
	global_load_dwordx2 v[0:1], v8, s[24:25] offset:40
	v_mov_b32_e32 v12, s12
	v_mov_b32_e32 v13, s13
	s_waitcnt vmcnt(0)
	v_readfirstlane_b32 s16, v0
	v_readfirstlane_b32 s17, v1
	s_and_b64 s[16:17], s[16:17], s[12:13]
	s_mul_i32 s7, s17, 24
	s_mul_hi_u32 s17, s16, 24
	s_mul_i32 s16, s16, 24
	s_add_i32 s17, s17, s7
	v_lshl_add_u64 v[4:5], v[6:7], 0, s[16:17]
	global_store_dwordx2 v[4:5], v[14:15], off
	buffer_wbl2 sc0 sc1
	s_waitcnt vmcnt(0)
	global_atomic_cmpswap_x2 v[2:3], v8, v[12:15], s[24:25] offset:32 sc0 sc1
	s_waitcnt vmcnt(0)
	v_cmp_ne_u64_e32 vcc, v[2:3], v[14:15]
	s_and_saveexec_b64 s[16:17], vcc
	s_cbranch_execz .LBB4_1308
; %bb.1306:
	s_mov_b64 s[18:19], 0
.LBB4_1307:                             ; =>This Inner Loop Header: Depth=1
	s_sleep 1
	global_store_dwordx2 v[4:5], v[2:3], off
	v_mov_b32_e32 v0, s12
	v_mov_b32_e32 v1, s13
	buffer_wbl2 sc0 sc1
	s_waitcnt vmcnt(0)
	global_atomic_cmpswap_x2 v[0:1], v8, v[0:3], s[24:25] offset:32 sc0 sc1
	s_waitcnt vmcnt(0)
	v_cmp_eq_u64_e32 vcc, v[0:1], v[2:3]
	s_or_b64 s[18:19], vcc, s[18:19]
	v_mov_b64_e32 v[2:3], v[0:1]
	s_andn2_b64 exec, exec, s[18:19]
	s_cbranch_execnz .LBB4_1307
.LBB4_1308:
	s_or_b64 exec, exec, s[16:17]
	v_mov_b32_e32 v3, 0
	global_load_dwordx2 v[0:1], v3, s[24:25] offset:16
	s_mov_b64 s[16:17], exec
	v_mbcnt_lo_u32_b32 v2, s16, 0
	v_mbcnt_hi_u32_b32 v2, s17, v2
	v_cmp_eq_u32_e32 vcc, 0, v2
	s_and_saveexec_b64 s[18:19], vcc
	s_cbranch_execz .LBB4_1310
; %bb.1309:
	s_bcnt1_i32_b64 s7, s[16:17]
	v_mov_b32_e32 v2, s7
	buffer_wbl2 sc0 sc1
	s_waitcnt vmcnt(0)
	global_atomic_add_x2 v[0:1], v[2:3], off offset:8 sc1
.LBB4_1310:
	s_or_b64 exec, exec, s[18:19]
	s_waitcnt vmcnt(0)
	global_load_dwordx2 v[2:3], v[0:1], off offset:16
	s_waitcnt vmcnt(0)
	v_cmp_eq_u64_e32 vcc, 0, v[2:3]
	s_cbranch_vccnz .LBB4_1312
; %bb.1311:
	global_load_dword v0, v[0:1], off offset:24
	v_mov_b32_e32 v1, 0
	buffer_wbl2 sc0 sc1
	s_waitcnt vmcnt(0)
	global_store_dwordx2 v[2:3], v[0:1], off sc0 sc1
	v_and_b32_e32 v0, 0xffffff, v0
	s_nop 0
	v_readfirstlane_b32 m0, v0
	s_sendmsg sendmsg(MSG_INTERRUPT)
.LBB4_1312:
	s_or_b64 exec, exec, s[14:15]
	s_branch .LBB4_1316
.LBB4_1313:                             ;   in Loop: Header=BB4_1316 Depth=1
	s_or_b64 exec, exec, s[14:15]
	v_readfirstlane_b32 s7, v0
	s_cmp_eq_u32 s7, 0
	s_cbranch_scc1 .LBB4_1315
; %bb.1314:                             ;   in Loop: Header=BB4_1316 Depth=1
	s_sleep 1
	s_cbranch_execnz .LBB4_1316
	s_branch .LBB4_1318
.LBB4_1315:
	s_branch .LBB4_1318
.LBB4_1316:                             ; =>This Inner Loop Header: Depth=1
	v_mov_b32_e32 v0, 1
	s_and_saveexec_b64 s[14:15], s[0:1]
	s_cbranch_execz .LBB4_1313
; %bb.1317:                             ;   in Loop: Header=BB4_1316 Depth=1
	global_load_dword v0, v[10:11], off offset:20 sc0 sc1
	s_waitcnt vmcnt(0)
	buffer_inv sc0 sc1
	v_and_b32_e32 v0, 1, v0
	s_branch .LBB4_1313
.LBB4_1318:
	s_and_saveexec_b64 s[14:15], s[0:1]
	s_cbranch_execz .LBB4_1321
; %bb.1319:
	v_mov_b32_e32 v6, 0
	global_load_dwordx2 v[4:5], v6, s[24:25] offset:40
	global_load_dwordx2 v[8:9], v6, s[24:25] offset:24 sc0 sc1
	global_load_dwordx2 v[10:11], v6, s[24:25]
	s_mov_b64 s[0:1], 0
	s_waitcnt vmcnt(2)
	v_lshl_add_u64 v[0:1], v[4:5], 0, 1
	v_lshl_add_u64 v[12:13], v[0:1], 0, s[12:13]
	v_cmp_eq_u64_e32 vcc, 0, v[12:13]
	s_waitcnt vmcnt(1)
	v_mov_b32_e32 v2, v8
	v_cndmask_b32_e32 v1, v13, v1, vcc
	v_cndmask_b32_e32 v0, v12, v0, vcc
	v_and_b32_e32 v3, v1, v5
	v_and_b32_e32 v4, v0, v4
	v_mul_lo_u32 v3, v3, 24
	v_mul_hi_u32 v5, v4, 24
	v_mul_lo_u32 v4, v4, 24
	v_add_u32_e32 v5, v5, v3
	s_waitcnt vmcnt(0)
	v_lshl_add_u64 v[4:5], v[10:11], 0, v[4:5]
	global_store_dwordx2 v[4:5], v[8:9], off
	v_mov_b32_e32 v3, v9
	buffer_wbl2 sc0 sc1
	s_waitcnt vmcnt(0)
	global_atomic_cmpswap_x2 v[2:3], v6, v[0:3], s[24:25] offset:24 sc0 sc1
	s_waitcnt vmcnt(0)
	v_cmp_ne_u64_e32 vcc, v[2:3], v[8:9]
	s_and_b64 exec, exec, vcc
	s_cbranch_execz .LBB4_1321
.LBB4_1320:                             ; =>This Inner Loop Header: Depth=1
	s_sleep 1
	global_store_dwordx2 v[4:5], v[2:3], off
	buffer_wbl2 sc0 sc1
	s_waitcnt vmcnt(0)
	global_atomic_cmpswap_x2 v[8:9], v6, v[0:3], s[24:25] offset:24 sc0 sc1
	s_waitcnt vmcnt(0)
	v_cmp_eq_u64_e32 vcc, v[8:9], v[2:3]
	s_or_b64 s[0:1], vcc, s[0:1]
	v_mov_b64_e32 v[2:3], v[8:9]
	s_andn2_b64 exec, exec, s[0:1]
	s_cbranch_execnz .LBB4_1320
.LBB4_1321:
	s_or_b64 exec, exec, s[14:15]
	v_readfirstlane_b32 s0, v37
	v_mov_b64_e32 v[4:5], 0
	s_nop 0
	v_cmp_eq_u32_e64 s[0:1], s0, v37
	s_and_saveexec_b64 s[12:13], s[0:1]
	s_cbranch_execz .LBB4_1327
; %bb.1322:
	v_mov_b32_e32 v0, 0
	global_load_dwordx2 v[6:7], v0, s[24:25] offset:24 sc0 sc1
	s_waitcnt vmcnt(0)
	buffer_inv sc0 sc1
	global_load_dwordx2 v[2:3], v0, s[24:25] offset:40
	global_load_dwordx2 v[4:5], v0, s[24:25]
	s_waitcnt vmcnt(1)
	v_and_b32_e32 v1, v2, v6
	v_and_b32_e32 v2, v3, v7
	v_mul_lo_u32 v2, v2, 24
	v_mul_hi_u32 v3, v1, 24
	v_add_u32_e32 v3, v3, v2
	v_mul_lo_u32 v2, v1, 24
	s_waitcnt vmcnt(0)
	v_lshl_add_u64 v[2:3], v[4:5], 0, v[2:3]
	global_load_dwordx2 v[4:5], v[2:3], off sc0 sc1
	s_waitcnt vmcnt(0)
	global_atomic_cmpswap_x2 v[4:5], v0, v[4:7], s[24:25] offset:24 sc0 sc1
	s_waitcnt vmcnt(0)
	buffer_inv sc0 sc1
	v_cmp_ne_u64_e32 vcc, v[4:5], v[6:7]
	s_and_saveexec_b64 s[14:15], vcc
	s_cbranch_execz .LBB4_1326
; %bb.1323:
	s_mov_b64 s[16:17], 0
.LBB4_1324:                             ; =>This Inner Loop Header: Depth=1
	s_sleep 1
	global_load_dwordx2 v[2:3], v0, s[24:25] offset:40
	global_load_dwordx2 v[8:9], v0, s[24:25]
	v_mov_b64_e32 v[6:7], v[4:5]
	s_waitcnt vmcnt(1)
	v_and_b32_e32 v2, v2, v6
	v_and_b32_e32 v1, v3, v7
	s_waitcnt vmcnt(0)
	v_mad_u64_u32 v[2:3], s[18:19], v2, 24, v[8:9]
	v_mov_b32_e32 v4, v3
	v_mad_u64_u32 v[4:5], s[18:19], v1, 24, v[4:5]
	v_mov_b32_e32 v3, v4
	global_load_dwordx2 v[4:5], v[2:3], off sc0 sc1
	s_waitcnt vmcnt(0)
	global_atomic_cmpswap_x2 v[4:5], v0, v[4:7], s[24:25] offset:24 sc0 sc1
	s_waitcnt vmcnt(0)
	buffer_inv sc0 sc1
	v_cmp_eq_u64_e32 vcc, v[4:5], v[6:7]
	s_or_b64 s[16:17], vcc, s[16:17]
	s_andn2_b64 exec, exec, s[16:17]
	s_cbranch_execnz .LBB4_1324
; %bb.1325:
	s_or_b64 exec, exec, s[16:17]
.LBB4_1326:
	s_or_b64 exec, exec, s[14:15]
.LBB4_1327:
	s_or_b64 exec, exec, s[12:13]
	v_mov_b32_e32 v39, 0
	global_load_dwordx2 v[6:7], v39, s[24:25] offset:40
	global_load_dwordx4 v[0:3], v39, s[24:25]
	v_readfirstlane_b32 s12, v4
	v_readfirstlane_b32 s13, v5
	s_mov_b64 s[14:15], exec
	s_waitcnt vmcnt(1)
	v_readfirstlane_b32 s16, v6
	v_readfirstlane_b32 s17, v7
	s_and_b64 s[16:17], s[12:13], s[16:17]
	s_mul_i32 s7, s17, 24
	s_mul_hi_u32 s18, s16, 24
	s_add_i32 s19, s18, s7
	s_mul_i32 s18, s16, 24
	s_waitcnt vmcnt(0)
	v_lshl_add_u64 v[4:5], v[0:1], 0, s[18:19]
	s_and_saveexec_b64 s[18:19], s[0:1]
	s_cbranch_execz .LBB4_1329
; %bb.1328:
	v_mov_b64_e32 v[6:7], s[14:15]
	v_mov_b32_e32 v8, 2
	v_mov_b32_e32 v9, 1
	global_store_dwordx4 v[4:5], v[6:9], off offset:8
.LBB4_1329:
	s_or_b64 exec, exec, s[18:19]
	s_lshl_b64 s[14:15], s[16:17], 12
	v_lshl_add_u64 v[6:7], v[2:3], 0, s[14:15]
	s_mov_b32 s16, 0
	v_mov_b32_e32 v8, 33
	v_mov_b32_e32 v9, v39
	;; [unrolled: 1-line block ×4, first 2 shown]
	v_readfirstlane_b32 s14, v6
	v_readfirstlane_b32 s15, v7
	s_mov_b32 s17, s16
	s_mov_b32 s18, s16
	;; [unrolled: 1-line block ×3, first 2 shown]
	s_nop 1
	global_store_dwordx4 v38, v[8:11], s[14:15]
	s_nop 1
	v_mov_b64_e32 v[8:9], s[16:17]
	v_mov_b64_e32 v[10:11], s[18:19]
	global_store_dwordx4 v38, v[8:11], s[14:15] offset:16
	global_store_dwordx4 v38, v[8:11], s[14:15] offset:32
	;; [unrolled: 1-line block ×3, first 2 shown]
	s_and_saveexec_b64 s[14:15], s[0:1]
	s_cbranch_execz .LBB4_1337
; %bb.1330:
	v_mov_b32_e32 v10, 0
	global_load_dwordx2 v[14:15], v10, s[24:25] offset:32 sc0 sc1
	global_load_dwordx2 v[2:3], v10, s[24:25] offset:40
	v_mov_b32_e32 v12, s12
	v_mov_b32_e32 v13, s13
	s_waitcnt vmcnt(0)
	v_readfirstlane_b32 s16, v2
	v_readfirstlane_b32 s17, v3
	s_and_b64 s[16:17], s[16:17], s[12:13]
	s_mul_i32 s7, s17, 24
	s_mul_hi_u32 s17, s16, 24
	s_mul_i32 s16, s16, 24
	s_add_i32 s17, s17, s7
	v_lshl_add_u64 v[8:9], v[0:1], 0, s[16:17]
	global_store_dwordx2 v[8:9], v[14:15], off
	buffer_wbl2 sc0 sc1
	s_waitcnt vmcnt(0)
	global_atomic_cmpswap_x2 v[2:3], v10, v[12:15], s[24:25] offset:32 sc0 sc1
	s_waitcnt vmcnt(0)
	v_cmp_ne_u64_e32 vcc, v[2:3], v[14:15]
	s_and_saveexec_b64 s[16:17], vcc
	s_cbranch_execz .LBB4_1333
; %bb.1331:
	s_mov_b64 s[18:19], 0
.LBB4_1332:                             ; =>This Inner Loop Header: Depth=1
	s_sleep 1
	global_store_dwordx2 v[8:9], v[2:3], off
	v_mov_b32_e32 v0, s12
	v_mov_b32_e32 v1, s13
	buffer_wbl2 sc0 sc1
	s_waitcnt vmcnt(0)
	global_atomic_cmpswap_x2 v[0:1], v10, v[0:3], s[24:25] offset:32 sc0 sc1
	s_waitcnt vmcnt(0)
	v_cmp_eq_u64_e32 vcc, v[0:1], v[2:3]
	s_or_b64 s[18:19], vcc, s[18:19]
	v_mov_b64_e32 v[2:3], v[0:1]
	s_andn2_b64 exec, exec, s[18:19]
	s_cbranch_execnz .LBB4_1332
.LBB4_1333:
	s_or_b64 exec, exec, s[16:17]
	v_mov_b32_e32 v3, 0
	global_load_dwordx2 v[0:1], v3, s[24:25] offset:16
	s_mov_b64 s[16:17], exec
	v_mbcnt_lo_u32_b32 v2, s16, 0
	v_mbcnt_hi_u32_b32 v2, s17, v2
	v_cmp_eq_u32_e32 vcc, 0, v2
	s_and_saveexec_b64 s[18:19], vcc
	s_cbranch_execz .LBB4_1335
; %bb.1334:
	s_bcnt1_i32_b64 s7, s[16:17]
	v_mov_b32_e32 v2, s7
	buffer_wbl2 sc0 sc1
	s_waitcnt vmcnt(0)
	global_atomic_add_x2 v[0:1], v[2:3], off offset:8 sc1
.LBB4_1335:
	s_or_b64 exec, exec, s[18:19]
	s_waitcnt vmcnt(0)
	global_load_dwordx2 v[2:3], v[0:1], off offset:16
	s_waitcnt vmcnt(0)
	v_cmp_eq_u64_e32 vcc, 0, v[2:3]
	s_cbranch_vccnz .LBB4_1337
; %bb.1336:
	global_load_dword v0, v[0:1], off offset:24
	v_mov_b32_e32 v1, 0
	buffer_wbl2 sc0 sc1
	s_waitcnt vmcnt(0)
	global_store_dwordx2 v[2:3], v[0:1], off sc0 sc1
	v_and_b32_e32 v0, 0xffffff, v0
	s_nop 0
	v_readfirstlane_b32 m0, v0
	s_sendmsg sendmsg(MSG_INTERRUPT)
.LBB4_1337:
	s_or_b64 exec, exec, s[14:15]
	v_lshl_add_u64 v[0:1], v[6:7], 0, v[38:39]
	s_branch .LBB4_1341
.LBB4_1338:                             ;   in Loop: Header=BB4_1341 Depth=1
	s_or_b64 exec, exec, s[14:15]
	v_readfirstlane_b32 s7, v2
	s_cmp_eq_u32 s7, 0
	s_cbranch_scc1 .LBB4_1340
; %bb.1339:                             ;   in Loop: Header=BB4_1341 Depth=1
	s_sleep 1
	s_cbranch_execnz .LBB4_1341
	s_branch .LBB4_1343
.LBB4_1340:
	s_branch .LBB4_1343
.LBB4_1341:                             ; =>This Inner Loop Header: Depth=1
	v_mov_b32_e32 v2, 1
	s_and_saveexec_b64 s[14:15], s[0:1]
	s_cbranch_execz .LBB4_1338
; %bb.1342:                             ;   in Loop: Header=BB4_1341 Depth=1
	global_load_dword v2, v[4:5], off offset:20 sc0 sc1
	s_waitcnt vmcnt(0)
	buffer_inv sc0 sc1
	v_and_b32_e32 v2, 1, v2
	s_branch .LBB4_1338
.LBB4_1343:
	global_load_dwordx2 v[4:5], v[0:1], off
	s_and_saveexec_b64 s[14:15], s[0:1]
	s_cbranch_execz .LBB4_1346
; %bb.1344:
	v_mov_b32_e32 v8, 0
	global_load_dwordx2 v[6:7], v8, s[24:25] offset:40
	global_load_dwordx2 v[10:11], v8, s[24:25] offset:24 sc0 sc1
	global_load_dwordx2 v[12:13], v8, s[24:25]
	s_mov_b64 s[0:1], 0
	s_waitcnt vmcnt(2)
	v_lshl_add_u64 v[0:1], v[6:7], 0, 1
	v_lshl_add_u64 v[14:15], v[0:1], 0, s[12:13]
	v_cmp_eq_u64_e32 vcc, 0, v[14:15]
	s_waitcnt vmcnt(1)
	v_mov_b32_e32 v2, v10
	v_cndmask_b32_e32 v1, v15, v1, vcc
	v_cndmask_b32_e32 v0, v14, v0, vcc
	v_and_b32_e32 v3, v1, v7
	v_and_b32_e32 v6, v0, v6
	v_mul_lo_u32 v3, v3, 24
	v_mul_hi_u32 v7, v6, 24
	v_mul_lo_u32 v6, v6, 24
	v_add_u32_e32 v7, v7, v3
	s_waitcnt vmcnt(0)
	v_lshl_add_u64 v[6:7], v[12:13], 0, v[6:7]
	global_store_dwordx2 v[6:7], v[10:11], off
	v_mov_b32_e32 v3, v11
	buffer_wbl2 sc0 sc1
	s_waitcnt vmcnt(0)
	global_atomic_cmpswap_x2 v[2:3], v8, v[0:3], s[24:25] offset:24 sc0 sc1
	s_waitcnt vmcnt(0)
	v_cmp_ne_u64_e32 vcc, v[2:3], v[10:11]
	s_and_b64 exec, exec, vcc
	s_cbranch_execz .LBB4_1346
.LBB4_1345:                             ; =>This Inner Loop Header: Depth=1
	s_sleep 1
	global_store_dwordx2 v[6:7], v[2:3], off
	buffer_wbl2 sc0 sc1
	s_waitcnt vmcnt(0)
	global_atomic_cmpswap_x2 v[10:11], v8, v[0:3], s[24:25] offset:24 sc0 sc1
	s_waitcnt vmcnt(0)
	v_cmp_eq_u64_e32 vcc, v[10:11], v[2:3]
	s_or_b64 s[0:1], vcc, s[0:1]
	v_mov_b64_e32 v[2:3], v[10:11]
	s_andn2_b64 exec, exec, s[0:1]
	s_cbranch_execnz .LBB4_1345
.LBB4_1346:
	s_or_b64 exec, exec, s[14:15]
	s_and_b64 vcc, exec, s[10:11]
	s_cbranch_vccz .LBB4_1431
; %bb.1347:
	s_waitcnt vmcnt(0)
	v_and_b32_e32 v26, 2, v4
	v_mov_b32_e32 v29, 0
	v_and_b32_e32 v0, -3, v4
	v_mov_b32_e32 v1, v5
	s_mov_b64 s[12:13], 3
	v_mov_b32_e32 v8, 2
	v_mov_b32_e32 v9, 1
	s_getpc_b64 s[10:11]
	s_add_u32 s10, s10, .str.5@rel32@lo+4
	s_addc_u32 s11, s11, .str.5@rel32@hi+12
	s_branch .LBB4_1349
.LBB4_1348:                             ;   in Loop: Header=BB4_1349 Depth=1
	s_or_b64 exec, exec, s[18:19]
	s_sub_u32 s12, s12, s14
	s_subb_u32 s13, s13, s15
	s_add_u32 s10, s10, s14
	s_addc_u32 s11, s11, s15
	s_cmp_lg_u64 s[12:13], 0
	s_cbranch_scc0 .LBB4_1430
.LBB4_1349:                             ; =>This Loop Header: Depth=1
                                        ;     Child Loop BB4_1352 Depth 2
                                        ;     Child Loop BB4_1359 Depth 2
	;; [unrolled: 1-line block ×11, first 2 shown]
	v_cmp_lt_u64_e64 s[0:1], s[12:13], 56
	s_and_b64 s[0:1], s[0:1], exec
	v_cmp_gt_u64_e64 s[0:1], s[12:13], 7
	s_cselect_b32 s15, s13, 0
	s_cselect_b32 s14, s12, 56
	s_and_b64 vcc, exec, s[0:1]
	s_cbranch_vccnz .LBB4_1354
; %bb.1350:                             ;   in Loop: Header=BB4_1349 Depth=1
	s_mov_b64 s[0:1], 0
	s_cmp_eq_u64 s[12:13], 0
	s_waitcnt vmcnt(0)
	v_mov_b64_e32 v[2:3], 0
	s_cbranch_scc1 .LBB4_1353
; %bb.1351:                             ;   in Loop: Header=BB4_1349 Depth=1
	s_lshl_b64 s[16:17], s[14:15], 3
	s_mov_b64 s[18:19], 0
	v_mov_b64_e32 v[2:3], 0
	s_mov_b64 s[20:21], s[10:11]
.LBB4_1352:                             ;   Parent Loop BB4_1349 Depth=1
                                        ; =>  This Inner Loop Header: Depth=2
	global_load_ubyte v6, v29, s[20:21]
	s_waitcnt vmcnt(0)
	v_and_b32_e32 v28, 0xffff, v6
	v_lshlrev_b64 v[6:7], s18, v[28:29]
	s_add_u32 s18, s18, 8
	s_addc_u32 s19, s19, 0
	s_add_u32 s20, s20, 1
	s_addc_u32 s21, s21, 0
	v_or_b32_e32 v2, v6, v2
	s_cmp_lg_u32 s16, s18
	v_or_b32_e32 v3, v7, v3
	s_cbranch_scc1 .LBB4_1352
.LBB4_1353:                             ;   in Loop: Header=BB4_1349 Depth=1
	s_mov_b32 s7, 0
	s_andn2_b64 vcc, exec, s[0:1]
	s_mov_b64 s[0:1], s[10:11]
	s_cbranch_vccz .LBB4_1355
	s_branch .LBB4_1356
.LBB4_1354:                             ;   in Loop: Header=BB4_1349 Depth=1
                                        ; implicit-def: $vgpr2_vgpr3
                                        ; implicit-def: $sgpr7
	s_mov_b64 s[0:1], s[10:11]
.LBB4_1355:                             ;   in Loop: Header=BB4_1349 Depth=1
	global_load_dwordx2 v[2:3], v29, s[10:11]
	s_add_i32 s7, s14, -8
	s_add_u32 s0, s10, 8
	s_addc_u32 s1, s11, 0
.LBB4_1356:                             ;   in Loop: Header=BB4_1349 Depth=1
	s_cmp_gt_u32 s7, 7
	s_cbranch_scc1 .LBB4_1360
; %bb.1357:                             ;   in Loop: Header=BB4_1349 Depth=1
	s_cmp_eq_u32 s7, 0
	s_cbranch_scc1 .LBB4_1361
; %bb.1358:                             ;   in Loop: Header=BB4_1349 Depth=1
	s_mov_b64 s[16:17], 0
	v_mov_b64_e32 v[10:11], 0
	s_mov_b64 s[18:19], 0
.LBB4_1359:                             ;   Parent Loop BB4_1349 Depth=1
                                        ; =>  This Inner Loop Header: Depth=2
	s_add_u32 s20, s0, s18
	s_addc_u32 s21, s1, s19
	global_load_ubyte v6, v29, s[20:21]
	s_add_u32 s18, s18, 1
	s_addc_u32 s19, s19, 0
	s_waitcnt vmcnt(0)
	v_and_b32_e32 v28, 0xffff, v6
	v_lshlrev_b64 v[6:7], s16, v[28:29]
	s_add_u32 s16, s16, 8
	s_addc_u32 s17, s17, 0
	v_or_b32_e32 v10, v6, v10
	s_cmp_lg_u32 s7, s18
	v_or_b32_e32 v11, v7, v11
	s_cbranch_scc1 .LBB4_1359
	s_branch .LBB4_1362
.LBB4_1360:                             ;   in Loop: Header=BB4_1349 Depth=1
                                        ; implicit-def: $vgpr10_vgpr11
                                        ; implicit-def: $sgpr20
	s_branch .LBB4_1363
.LBB4_1361:                             ;   in Loop: Header=BB4_1349 Depth=1
	v_mov_b64_e32 v[10:11], 0
.LBB4_1362:                             ;   in Loop: Header=BB4_1349 Depth=1
	s_mov_b32 s20, 0
	s_cbranch_execnz .LBB4_1364
.LBB4_1363:                             ;   in Loop: Header=BB4_1349 Depth=1
	global_load_dwordx2 v[10:11], v29, s[0:1]
	s_add_i32 s20, s7, -8
	s_add_u32 s0, s0, 8
	s_addc_u32 s1, s1, 0
.LBB4_1364:                             ;   in Loop: Header=BB4_1349 Depth=1
	s_cmp_gt_u32 s20, 7
	s_cbranch_scc1 .LBB4_1368
; %bb.1365:                             ;   in Loop: Header=BB4_1349 Depth=1
	s_cmp_eq_u32 s20, 0
	s_cbranch_scc1 .LBB4_1369
; %bb.1366:                             ;   in Loop: Header=BB4_1349 Depth=1
	s_mov_b64 s[16:17], 0
	v_mov_b64_e32 v[12:13], 0
	s_mov_b64 s[18:19], 0
.LBB4_1367:                             ;   Parent Loop BB4_1349 Depth=1
                                        ; =>  This Inner Loop Header: Depth=2
	s_add_u32 s28, s0, s18
	s_addc_u32 s29, s1, s19
	global_load_ubyte v6, v29, s[28:29]
	s_add_u32 s18, s18, 1
	s_addc_u32 s19, s19, 0
	s_waitcnt vmcnt(0)
	v_and_b32_e32 v28, 0xffff, v6
	v_lshlrev_b64 v[6:7], s16, v[28:29]
	s_add_u32 s16, s16, 8
	s_addc_u32 s17, s17, 0
	v_or_b32_e32 v12, v6, v12
	s_cmp_lg_u32 s20, s18
	v_or_b32_e32 v13, v7, v13
	s_cbranch_scc1 .LBB4_1367
	s_branch .LBB4_1370
.LBB4_1368:                             ;   in Loop: Header=BB4_1349 Depth=1
                                        ; implicit-def: $sgpr7
	s_branch .LBB4_1371
.LBB4_1369:                             ;   in Loop: Header=BB4_1349 Depth=1
	v_mov_b64_e32 v[12:13], 0
.LBB4_1370:                             ;   in Loop: Header=BB4_1349 Depth=1
	s_mov_b32 s7, 0
	s_cbranch_execnz .LBB4_1372
.LBB4_1371:                             ;   in Loop: Header=BB4_1349 Depth=1
	global_load_dwordx2 v[12:13], v29, s[0:1]
	s_add_i32 s7, s20, -8
	s_add_u32 s0, s0, 8
	s_addc_u32 s1, s1, 0
.LBB4_1372:                             ;   in Loop: Header=BB4_1349 Depth=1
	s_cmp_gt_u32 s7, 7
	s_cbranch_scc1 .LBB4_1376
; %bb.1373:                             ;   in Loop: Header=BB4_1349 Depth=1
	s_cmp_eq_u32 s7, 0
	s_cbranch_scc1 .LBB4_1377
; %bb.1374:                             ;   in Loop: Header=BB4_1349 Depth=1
	s_mov_b64 s[16:17], 0
	v_mov_b64_e32 v[14:15], 0
	s_mov_b64 s[18:19], 0
.LBB4_1375:                             ;   Parent Loop BB4_1349 Depth=1
                                        ; =>  This Inner Loop Header: Depth=2
	s_add_u32 s20, s0, s18
	s_addc_u32 s21, s1, s19
	global_load_ubyte v6, v29, s[20:21]
	s_add_u32 s18, s18, 1
	s_addc_u32 s19, s19, 0
	s_waitcnt vmcnt(0)
	v_and_b32_e32 v28, 0xffff, v6
	v_lshlrev_b64 v[6:7], s16, v[28:29]
	s_add_u32 s16, s16, 8
	s_addc_u32 s17, s17, 0
	v_or_b32_e32 v14, v6, v14
	s_cmp_lg_u32 s7, s18
	v_or_b32_e32 v15, v7, v15
	s_cbranch_scc1 .LBB4_1375
	s_branch .LBB4_1378
.LBB4_1376:                             ;   in Loop: Header=BB4_1349 Depth=1
                                        ; implicit-def: $vgpr14_vgpr15
                                        ; implicit-def: $sgpr20
	s_branch .LBB4_1379
.LBB4_1377:                             ;   in Loop: Header=BB4_1349 Depth=1
	v_mov_b64_e32 v[14:15], 0
.LBB4_1378:                             ;   in Loop: Header=BB4_1349 Depth=1
	s_mov_b32 s20, 0
	s_cbranch_execnz .LBB4_1380
.LBB4_1379:                             ;   in Loop: Header=BB4_1349 Depth=1
	global_load_dwordx2 v[14:15], v29, s[0:1]
	s_add_i32 s20, s7, -8
	s_add_u32 s0, s0, 8
	s_addc_u32 s1, s1, 0
.LBB4_1380:                             ;   in Loop: Header=BB4_1349 Depth=1
	s_cmp_gt_u32 s20, 7
	s_cbranch_scc1 .LBB4_1384
; %bb.1381:                             ;   in Loop: Header=BB4_1349 Depth=1
	s_cmp_eq_u32 s20, 0
	s_cbranch_scc1 .LBB4_1385
; %bb.1382:                             ;   in Loop: Header=BB4_1349 Depth=1
	s_mov_b64 s[16:17], 0
	v_mov_b64_e32 v[16:17], 0
	s_mov_b64 s[18:19], 0
.LBB4_1383:                             ;   Parent Loop BB4_1349 Depth=1
                                        ; =>  This Inner Loop Header: Depth=2
	s_add_u32 s28, s0, s18
	s_addc_u32 s29, s1, s19
	global_load_ubyte v6, v29, s[28:29]
	s_add_u32 s18, s18, 1
	s_addc_u32 s19, s19, 0
	s_waitcnt vmcnt(0)
	v_and_b32_e32 v28, 0xffff, v6
	v_lshlrev_b64 v[6:7], s16, v[28:29]
	s_add_u32 s16, s16, 8
	s_addc_u32 s17, s17, 0
	v_or_b32_e32 v16, v6, v16
	s_cmp_lg_u32 s20, s18
	v_or_b32_e32 v17, v7, v17
	s_cbranch_scc1 .LBB4_1383
	s_branch .LBB4_1386
.LBB4_1384:                             ;   in Loop: Header=BB4_1349 Depth=1
                                        ; implicit-def: $sgpr7
	s_branch .LBB4_1387
.LBB4_1385:                             ;   in Loop: Header=BB4_1349 Depth=1
	v_mov_b64_e32 v[16:17], 0
.LBB4_1386:                             ;   in Loop: Header=BB4_1349 Depth=1
	s_mov_b32 s7, 0
	s_cbranch_execnz .LBB4_1388
.LBB4_1387:                             ;   in Loop: Header=BB4_1349 Depth=1
	global_load_dwordx2 v[16:17], v29, s[0:1]
	s_add_i32 s7, s20, -8
	s_add_u32 s0, s0, 8
	s_addc_u32 s1, s1, 0
.LBB4_1388:                             ;   in Loop: Header=BB4_1349 Depth=1
	s_cmp_gt_u32 s7, 7
	s_cbranch_scc1 .LBB4_1392
; %bb.1389:                             ;   in Loop: Header=BB4_1349 Depth=1
	s_cmp_eq_u32 s7, 0
	s_cbranch_scc1 .LBB4_1393
; %bb.1390:                             ;   in Loop: Header=BB4_1349 Depth=1
	s_mov_b64 s[16:17], 0
	v_mov_b64_e32 v[18:19], 0
	s_mov_b64 s[18:19], 0
.LBB4_1391:                             ;   Parent Loop BB4_1349 Depth=1
                                        ; =>  This Inner Loop Header: Depth=2
	s_add_u32 s20, s0, s18
	s_addc_u32 s21, s1, s19
	global_load_ubyte v6, v29, s[20:21]
	s_add_u32 s18, s18, 1
	s_addc_u32 s19, s19, 0
	s_waitcnt vmcnt(0)
	v_and_b32_e32 v28, 0xffff, v6
	v_lshlrev_b64 v[6:7], s16, v[28:29]
	s_add_u32 s16, s16, 8
	s_addc_u32 s17, s17, 0
	v_or_b32_e32 v18, v6, v18
	s_cmp_lg_u32 s7, s18
	v_or_b32_e32 v19, v7, v19
	s_cbranch_scc1 .LBB4_1391
	s_branch .LBB4_1394
.LBB4_1392:                             ;   in Loop: Header=BB4_1349 Depth=1
                                        ; implicit-def: $vgpr18_vgpr19
                                        ; implicit-def: $sgpr20
	s_branch .LBB4_1395
.LBB4_1393:                             ;   in Loop: Header=BB4_1349 Depth=1
	v_mov_b64_e32 v[18:19], 0
.LBB4_1394:                             ;   in Loop: Header=BB4_1349 Depth=1
	s_mov_b32 s20, 0
	s_cbranch_execnz .LBB4_1396
.LBB4_1395:                             ;   in Loop: Header=BB4_1349 Depth=1
	global_load_dwordx2 v[18:19], v29, s[0:1]
	s_add_i32 s20, s7, -8
	s_add_u32 s0, s0, 8
	s_addc_u32 s1, s1, 0
.LBB4_1396:                             ;   in Loop: Header=BB4_1349 Depth=1
	s_cmp_gt_u32 s20, 7
	s_cbranch_scc1 .LBB4_1400
; %bb.1397:                             ;   in Loop: Header=BB4_1349 Depth=1
	s_cmp_eq_u32 s20, 0
	s_cbranch_scc1 .LBB4_1401
; %bb.1398:                             ;   in Loop: Header=BB4_1349 Depth=1
	s_mov_b64 s[16:17], 0
	v_mov_b64_e32 v[20:21], 0
	s_mov_b64 s[18:19], s[0:1]
.LBB4_1399:                             ;   Parent Loop BB4_1349 Depth=1
                                        ; =>  This Inner Loop Header: Depth=2
	global_load_ubyte v6, v29, s[18:19]
	s_add_i32 s20, s20, -1
	s_waitcnt vmcnt(0)
	v_and_b32_e32 v28, 0xffff, v6
	v_lshlrev_b64 v[6:7], s16, v[28:29]
	s_add_u32 s16, s16, 8
	s_addc_u32 s17, s17, 0
	s_add_u32 s18, s18, 1
	s_addc_u32 s19, s19, 0
	v_or_b32_e32 v20, v6, v20
	s_cmp_lg_u32 s20, 0
	v_or_b32_e32 v21, v7, v21
	s_cbranch_scc1 .LBB4_1399
	s_branch .LBB4_1402
.LBB4_1400:                             ;   in Loop: Header=BB4_1349 Depth=1
	s_branch .LBB4_1403
.LBB4_1401:                             ;   in Loop: Header=BB4_1349 Depth=1
	v_mov_b64_e32 v[20:21], 0
.LBB4_1402:                             ;   in Loop: Header=BB4_1349 Depth=1
	s_cbranch_execnz .LBB4_1404
.LBB4_1403:                             ;   in Loop: Header=BB4_1349 Depth=1
	global_load_dwordx2 v[20:21], v29, s[0:1]
.LBB4_1404:                             ;   in Loop: Header=BB4_1349 Depth=1
	v_readfirstlane_b32 s0, v37
	v_mov_b64_e32 v[6:7], 0
	s_nop 0
	v_cmp_eq_u32_e64 s[0:1], s0, v37
	s_and_saveexec_b64 s[16:17], s[0:1]
	s_cbranch_execz .LBB4_1410
; %bb.1405:                             ;   in Loop: Header=BB4_1349 Depth=1
	global_load_dwordx2 v[24:25], v29, s[24:25] offset:24 sc0 sc1
	s_waitcnt vmcnt(0)
	buffer_inv sc0 sc1
	global_load_dwordx2 v[6:7], v29, s[24:25] offset:40
	global_load_dwordx2 v[22:23], v29, s[24:25]
	s_waitcnt vmcnt(1)
	v_and_b32_e32 v6, v6, v24
	v_and_b32_e32 v7, v7, v25
	v_mul_lo_u32 v7, v7, 24
	v_mul_hi_u32 v27, v6, 24
	v_add_u32_e32 v7, v27, v7
	v_mul_lo_u32 v6, v6, 24
	s_waitcnt vmcnt(0)
	v_lshl_add_u64 v[6:7], v[22:23], 0, v[6:7]
	global_load_dwordx2 v[22:23], v[6:7], off sc0 sc1
	s_waitcnt vmcnt(0)
	global_atomic_cmpswap_x2 v[6:7], v29, v[22:25], s[24:25] offset:24 sc0 sc1
	s_waitcnt vmcnt(0)
	buffer_inv sc0 sc1
	v_cmp_ne_u64_e32 vcc, v[6:7], v[24:25]
	s_and_saveexec_b64 s[18:19], vcc
	s_cbranch_execz .LBB4_1409
; %bb.1406:                             ;   in Loop: Header=BB4_1349 Depth=1
	s_mov_b64 s[20:21], 0
.LBB4_1407:                             ;   Parent Loop BB4_1349 Depth=1
                                        ; =>  This Inner Loop Header: Depth=2
	s_sleep 1
	global_load_dwordx2 v[22:23], v29, s[24:25] offset:40
	global_load_dwordx2 v[30:31], v29, s[24:25]
	v_mov_b64_e32 v[24:25], v[6:7]
	s_waitcnt vmcnt(1)
	v_and_b32_e32 v6, v22, v24
	s_waitcnt vmcnt(0)
	v_mad_u64_u32 v[6:7], s[28:29], v6, 24, v[30:31]
	v_and_b32_e32 v23, v23, v25
	v_mov_b32_e32 v22, v7
	v_mad_u64_u32 v[22:23], s[28:29], v23, 24, v[22:23]
	v_mov_b32_e32 v7, v22
	global_load_dwordx2 v[22:23], v[6:7], off sc0 sc1
	s_waitcnt vmcnt(0)
	global_atomic_cmpswap_x2 v[6:7], v29, v[22:25], s[24:25] offset:24 sc0 sc1
	s_waitcnt vmcnt(0)
	buffer_inv sc0 sc1
	v_cmp_eq_u64_e32 vcc, v[6:7], v[24:25]
	s_or_b64 s[20:21], vcc, s[20:21]
	s_andn2_b64 exec, exec, s[20:21]
	s_cbranch_execnz .LBB4_1407
; %bb.1408:                             ;   in Loop: Header=BB4_1349 Depth=1
	s_or_b64 exec, exec, s[20:21]
.LBB4_1409:                             ;   in Loop: Header=BB4_1349 Depth=1
	s_or_b64 exec, exec, s[18:19]
.LBB4_1410:                             ;   in Loop: Header=BB4_1349 Depth=1
	s_or_b64 exec, exec, s[16:17]
	global_load_dwordx2 v[30:31], v29, s[24:25] offset:40
	global_load_dwordx4 v[22:25], v29, s[24:25]
	v_readfirstlane_b32 s16, v6
	v_readfirstlane_b32 s17, v7
	s_mov_b64 s[18:19], exec
	s_waitcnt vmcnt(1)
	v_readfirstlane_b32 s20, v30
	v_readfirstlane_b32 s21, v31
	s_and_b64 s[20:21], s[16:17], s[20:21]
	s_mul_i32 s7, s21, 24
	s_mul_hi_u32 s28, s20, 24
	s_add_i32 s29, s28, s7
	s_mul_i32 s28, s20, 24
	s_waitcnt vmcnt(0)
	v_lshl_add_u64 v[30:31], v[22:23], 0, s[28:29]
	s_and_saveexec_b64 s[28:29], s[0:1]
	s_cbranch_execz .LBB4_1412
; %bb.1411:                             ;   in Loop: Header=BB4_1349 Depth=1
	v_mov_b64_e32 v[6:7], s[18:19]
	global_store_dwordx4 v[30:31], v[6:9], off offset:8
.LBB4_1412:                             ;   in Loop: Header=BB4_1349 Depth=1
	s_or_b64 exec, exec, s[28:29]
	s_lshl_b64 s[18:19], s[20:21], 12
	v_lshl_add_u64 v[6:7], v[24:25], 0, s[18:19]
	v_or_b32_e32 v25, v0, v26
	v_cmp_gt_u64_e64 vcc, s[12:13], 56
	s_lshl_b32 s7, s14, 2
	s_add_i32 s7, s7, 28
	v_cndmask_b32_e32 v0, v25, v0, vcc
	v_or_b32_e32 v24, 0, v1
	s_and_b32 s7, s7, 0x1e0
	v_and_b32_e32 v0, 0xffffff1f, v0
	v_cndmask_b32_e32 v1, v24, v1, vcc
	v_or_b32_e32 v0, s7, v0
	v_readfirstlane_b32 s18, v6
	v_readfirstlane_b32 s19, v7
	s_nop 4
	global_store_dwordx4 v38, v[0:3], s[18:19]
	global_store_dwordx4 v38, v[10:13], s[18:19] offset:16
	global_store_dwordx4 v38, v[14:17], s[18:19] offset:32
	;; [unrolled: 1-line block ×3, first 2 shown]
	s_and_saveexec_b64 s[18:19], s[0:1]
	s_cbranch_execz .LBB4_1420
; %bb.1413:                             ;   in Loop: Header=BB4_1349 Depth=1
	global_load_dwordx2 v[14:15], v29, s[24:25] offset:32 sc0 sc1
	global_load_dwordx2 v[0:1], v29, s[24:25] offset:40
	v_mov_b32_e32 v12, s16
	v_mov_b32_e32 v13, s17
	s_waitcnt vmcnt(0)
	v_readfirstlane_b32 s20, v0
	v_readfirstlane_b32 s21, v1
	s_and_b64 s[20:21], s[20:21], s[16:17]
	s_mul_i32 s7, s21, 24
	s_mul_hi_u32 s21, s20, 24
	s_mul_i32 s20, s20, 24
	s_add_i32 s21, s21, s7
	v_lshl_add_u64 v[10:11], v[22:23], 0, s[20:21]
	global_store_dwordx2 v[10:11], v[14:15], off
	buffer_wbl2 sc0 sc1
	s_waitcnt vmcnt(0)
	global_atomic_cmpswap_x2 v[2:3], v29, v[12:15], s[24:25] offset:32 sc0 sc1
	s_waitcnt vmcnt(0)
	v_cmp_ne_u64_e32 vcc, v[2:3], v[14:15]
	s_and_saveexec_b64 s[20:21], vcc
	s_cbranch_execz .LBB4_1416
; %bb.1414:                             ;   in Loop: Header=BB4_1349 Depth=1
	s_mov_b64 s[28:29], 0
.LBB4_1415:                             ;   Parent Loop BB4_1349 Depth=1
                                        ; =>  This Inner Loop Header: Depth=2
	s_sleep 1
	global_store_dwordx2 v[10:11], v[2:3], off
	v_mov_b32_e32 v0, s16
	v_mov_b32_e32 v1, s17
	buffer_wbl2 sc0 sc1
	s_waitcnt vmcnt(0)
	global_atomic_cmpswap_x2 v[0:1], v29, v[0:3], s[24:25] offset:32 sc0 sc1
	s_waitcnt vmcnt(0)
	v_cmp_eq_u64_e32 vcc, v[0:1], v[2:3]
	s_or_b64 s[28:29], vcc, s[28:29]
	v_mov_b64_e32 v[2:3], v[0:1]
	s_andn2_b64 exec, exec, s[28:29]
	s_cbranch_execnz .LBB4_1415
.LBB4_1416:                             ;   in Loop: Header=BB4_1349 Depth=1
	s_or_b64 exec, exec, s[20:21]
	global_load_dwordx2 v[0:1], v29, s[24:25] offset:16
	s_mov_b64 s[28:29], exec
	v_mbcnt_lo_u32_b32 v2, s28, 0
	v_mbcnt_hi_u32_b32 v2, s29, v2
	v_cmp_eq_u32_e32 vcc, 0, v2
	s_and_saveexec_b64 s[20:21], vcc
	s_cbranch_execz .LBB4_1418
; %bb.1417:                             ;   in Loop: Header=BB4_1349 Depth=1
	s_bcnt1_i32_b64 s7, s[28:29]
	v_mov_b32_e32 v28, s7
	buffer_wbl2 sc0 sc1
	s_waitcnt vmcnt(0)
	global_atomic_add_x2 v[0:1], v[28:29], off offset:8 sc1
.LBB4_1418:                             ;   in Loop: Header=BB4_1349 Depth=1
	s_or_b64 exec, exec, s[20:21]
	s_waitcnt vmcnt(0)
	global_load_dwordx2 v[2:3], v[0:1], off offset:16
	s_waitcnt vmcnt(0)
	v_cmp_eq_u64_e32 vcc, 0, v[2:3]
	s_cbranch_vccnz .LBB4_1420
; %bb.1419:                             ;   in Loop: Header=BB4_1349 Depth=1
	global_load_dword v28, v[0:1], off offset:24
	s_waitcnt vmcnt(0)
	v_and_b32_e32 v0, 0xffffff, v28
	s_nop 0
	v_readfirstlane_b32 m0, v0
	buffer_wbl2 sc0 sc1
	global_store_dwordx2 v[2:3], v[28:29], off sc0 sc1
	s_sendmsg sendmsg(MSG_INTERRUPT)
.LBB4_1420:                             ;   in Loop: Header=BB4_1349 Depth=1
	s_or_b64 exec, exec, s[18:19]
	v_mov_b32_e32 v39, v29
	v_lshl_add_u64 v[0:1], v[6:7], 0, v[38:39]
	s_branch .LBB4_1424
.LBB4_1421:                             ;   in Loop: Header=BB4_1424 Depth=2
	s_or_b64 exec, exec, s[18:19]
	v_readfirstlane_b32 s7, v2
	s_cmp_eq_u32 s7, 0
	s_cbranch_scc1 .LBB4_1423
; %bb.1422:                             ;   in Loop: Header=BB4_1424 Depth=2
	s_sleep 1
	s_cbranch_execnz .LBB4_1424
	s_branch .LBB4_1426
.LBB4_1423:                             ;   in Loop: Header=BB4_1349 Depth=1
	s_branch .LBB4_1426
.LBB4_1424:                             ;   Parent Loop BB4_1349 Depth=1
                                        ; =>  This Inner Loop Header: Depth=2
	v_mov_b32_e32 v2, 1
	s_and_saveexec_b64 s[18:19], s[0:1]
	s_cbranch_execz .LBB4_1421
; %bb.1425:                             ;   in Loop: Header=BB4_1424 Depth=2
	global_load_dword v2, v[30:31], off offset:20 sc0 sc1
	s_waitcnt vmcnt(0)
	buffer_inv sc0 sc1
	v_and_b32_e32 v2, 1, v2
	s_branch .LBB4_1421
.LBB4_1426:                             ;   in Loop: Header=BB4_1349 Depth=1
	global_load_dwordx4 v[0:3], v[0:1], off
	s_and_saveexec_b64 s[18:19], s[0:1]
	s_cbranch_execz .LBB4_1348
; %bb.1427:                             ;   in Loop: Header=BB4_1349 Depth=1
	global_load_dwordx2 v[2:3], v29, s[24:25] offset:40
	global_load_dwordx2 v[6:7], v29, s[24:25] offset:24 sc0 sc1
	global_load_dwordx2 v[14:15], v29, s[24:25]
	s_waitcnt vmcnt(2)
	v_lshl_add_u64 v[10:11], v[2:3], 0, 1
	v_lshl_add_u64 v[16:17], v[10:11], 0, s[16:17]
	v_cmp_eq_u64_e32 vcc, 0, v[16:17]
	s_waitcnt vmcnt(1)
	v_mov_b32_e32 v12, v6
	v_cndmask_b32_e32 v11, v17, v11, vcc
	v_cndmask_b32_e32 v10, v16, v10, vcc
	v_and_b32_e32 v3, v11, v3
	v_and_b32_e32 v2, v10, v2
	v_mul_lo_u32 v3, v3, 24
	v_mul_hi_u32 v13, v2, 24
	v_mul_lo_u32 v2, v2, 24
	v_add_u32_e32 v3, v13, v3
	s_waitcnt vmcnt(0)
	v_lshl_add_u64 v[2:3], v[14:15], 0, v[2:3]
	global_store_dwordx2 v[2:3], v[6:7], off
	v_mov_b32_e32 v13, v7
	buffer_wbl2 sc0 sc1
	s_waitcnt vmcnt(0)
	global_atomic_cmpswap_x2 v[12:13], v29, v[10:13], s[24:25] offset:24 sc0 sc1
	s_waitcnt vmcnt(0)
	v_cmp_ne_u64_e32 vcc, v[12:13], v[6:7]
	s_and_b64 exec, exec, vcc
	s_cbranch_execz .LBB4_1348
; %bb.1428:                             ;   in Loop: Header=BB4_1349 Depth=1
	s_mov_b64 s[0:1], 0
.LBB4_1429:                             ;   Parent Loop BB4_1349 Depth=1
                                        ; =>  This Inner Loop Header: Depth=2
	s_sleep 1
	global_store_dwordx2 v[2:3], v[12:13], off
	buffer_wbl2 sc0 sc1
	s_waitcnt vmcnt(0)
	global_atomic_cmpswap_x2 v[6:7], v29, v[10:13], s[24:25] offset:24 sc0 sc1
	s_waitcnt vmcnt(0)
	v_cmp_eq_u64_e32 vcc, v[6:7], v[12:13]
	s_or_b64 s[0:1], vcc, s[0:1]
	v_mov_b64_e32 v[12:13], v[6:7]
	s_andn2_b64 exec, exec, s[0:1]
	s_cbranch_execnz .LBB4_1429
	s_branch .LBB4_1348
.LBB4_1430:
	s_branch .LBB4_1458
.LBB4_1431:
                                        ; implicit-def: $vgpr0_vgpr1
	s_cbranch_execz .LBB4_1458
; %bb.1432:
	v_readfirstlane_b32 s0, v37
	v_mov_b64_e32 v[6:7], 0
	s_nop 0
	v_cmp_eq_u32_e64 s[0:1], s0, v37
	s_and_saveexec_b64 s[10:11], s[0:1]
	s_cbranch_execz .LBB4_1438
; %bb.1433:
	s_waitcnt vmcnt(0)
	v_mov_b32_e32 v0, 0
	global_load_dwordx2 v[8:9], v0, s[24:25] offset:24 sc0 sc1
	s_waitcnt vmcnt(0)
	buffer_inv sc0 sc1
	global_load_dwordx2 v[2:3], v0, s[24:25] offset:40
	global_load_dwordx2 v[6:7], v0, s[24:25]
	s_waitcnt vmcnt(1)
	v_and_b32_e32 v1, v2, v8
	v_and_b32_e32 v2, v3, v9
	v_mul_lo_u32 v2, v2, 24
	v_mul_hi_u32 v3, v1, 24
	v_add_u32_e32 v3, v3, v2
	v_mul_lo_u32 v2, v1, 24
	s_waitcnt vmcnt(0)
	v_lshl_add_u64 v[2:3], v[6:7], 0, v[2:3]
	global_load_dwordx2 v[6:7], v[2:3], off sc0 sc1
	s_waitcnt vmcnt(0)
	global_atomic_cmpswap_x2 v[6:7], v0, v[6:9], s[24:25] offset:24 sc0 sc1
	s_waitcnt vmcnt(0)
	buffer_inv sc0 sc1
	v_cmp_ne_u64_e32 vcc, v[6:7], v[8:9]
	s_and_saveexec_b64 s[12:13], vcc
	s_cbranch_execz .LBB4_1437
; %bb.1434:
	s_mov_b64 s[14:15], 0
.LBB4_1435:                             ; =>This Inner Loop Header: Depth=1
	s_sleep 1
	global_load_dwordx2 v[2:3], v0, s[24:25] offset:40
	global_load_dwordx2 v[10:11], v0, s[24:25]
	v_mov_b64_e32 v[8:9], v[6:7]
	s_waitcnt vmcnt(1)
	v_and_b32_e32 v2, v2, v8
	v_and_b32_e32 v1, v3, v9
	s_waitcnt vmcnt(0)
	v_mad_u64_u32 v[2:3], s[16:17], v2, 24, v[10:11]
	v_mov_b32_e32 v6, v3
	v_mad_u64_u32 v[6:7], s[16:17], v1, 24, v[6:7]
	v_mov_b32_e32 v3, v6
	global_load_dwordx2 v[6:7], v[2:3], off sc0 sc1
	s_waitcnt vmcnt(0)
	global_atomic_cmpswap_x2 v[6:7], v0, v[6:9], s[24:25] offset:24 sc0 sc1
	s_waitcnt vmcnt(0)
	buffer_inv sc0 sc1
	v_cmp_eq_u64_e32 vcc, v[6:7], v[8:9]
	s_or_b64 s[14:15], vcc, s[14:15]
	s_andn2_b64 exec, exec, s[14:15]
	s_cbranch_execnz .LBB4_1435
; %bb.1436:
	s_or_b64 exec, exec, s[14:15]
.LBB4_1437:
	s_or_b64 exec, exec, s[12:13]
.LBB4_1438:
	s_or_b64 exec, exec, s[10:11]
	v_mov_b32_e32 v39, 0
	global_load_dwordx2 v[8:9], v39, s[24:25] offset:40
	global_load_dwordx4 v[0:3], v39, s[24:25]
	v_readfirstlane_b32 s10, v6
	v_readfirstlane_b32 s11, v7
	s_mov_b64 s[12:13], exec
	s_waitcnt vmcnt(1)
	v_readfirstlane_b32 s14, v8
	v_readfirstlane_b32 s15, v9
	s_and_b64 s[14:15], s[10:11], s[14:15]
	s_mul_i32 s7, s15, 24
	s_mul_hi_u32 s16, s14, 24
	s_add_i32 s17, s16, s7
	s_mul_i32 s16, s14, 24
	s_waitcnt vmcnt(0)
	v_lshl_add_u64 v[8:9], v[0:1], 0, s[16:17]
	s_and_saveexec_b64 s[16:17], s[0:1]
	s_cbranch_execz .LBB4_1440
; %bb.1439:
	v_mov_b64_e32 v[10:11], s[12:13]
	v_mov_b32_e32 v12, 2
	v_mov_b32_e32 v13, 1
	global_store_dwordx4 v[8:9], v[10:13], off offset:8
.LBB4_1440:
	s_or_b64 exec, exec, s[16:17]
	s_lshl_b64 s[12:13], s[14:15], 12
	v_lshl_add_u64 v[10:11], v[2:3], 0, s[12:13]
	s_movk_i32 s7, 0xff1f
	s_mov_b32 s12, 0
	v_and_or_b32 v4, v4, s7, 32
	v_mov_b32_e32 v6, v39
	v_mov_b32_e32 v7, v39
	v_readfirstlane_b32 s16, v10
	v_readfirstlane_b32 s17, v11
	s_mov_b32 s13, s12
	s_mov_b32 s14, s12
	;; [unrolled: 1-line block ×3, first 2 shown]
	s_nop 1
	global_store_dwordx4 v38, v[4:7], s[16:17]
	v_mov_b64_e32 v[2:3], s[12:13]
	s_nop 0
	v_mov_b64_e32 v[4:5], s[14:15]
	global_store_dwordx4 v38, v[2:5], s[16:17] offset:16
	global_store_dwordx4 v38, v[2:5], s[16:17] offset:32
	;; [unrolled: 1-line block ×3, first 2 shown]
	s_and_saveexec_b64 s[12:13], s[0:1]
	s_cbranch_execz .LBB4_1448
; %bb.1441:
	v_mov_b32_e32 v6, 0
	global_load_dwordx2 v[14:15], v6, s[24:25] offset:32 sc0 sc1
	global_load_dwordx2 v[2:3], v6, s[24:25] offset:40
	v_mov_b32_e32 v12, s10
	v_mov_b32_e32 v13, s11
	s_waitcnt vmcnt(0)
	v_readfirstlane_b32 s14, v2
	v_readfirstlane_b32 s15, v3
	s_and_b64 s[14:15], s[14:15], s[10:11]
	s_mul_i32 s7, s15, 24
	s_mul_hi_u32 s15, s14, 24
	s_mul_i32 s14, s14, 24
	s_add_i32 s15, s15, s7
	v_lshl_add_u64 v[4:5], v[0:1], 0, s[14:15]
	global_store_dwordx2 v[4:5], v[14:15], off
	buffer_wbl2 sc0 sc1
	s_waitcnt vmcnt(0)
	global_atomic_cmpswap_x2 v[2:3], v6, v[12:15], s[24:25] offset:32 sc0 sc1
	s_waitcnt vmcnt(0)
	v_cmp_ne_u64_e32 vcc, v[2:3], v[14:15]
	s_and_saveexec_b64 s[14:15], vcc
	s_cbranch_execz .LBB4_1444
; %bb.1442:
	s_mov_b64 s[16:17], 0
.LBB4_1443:                             ; =>This Inner Loop Header: Depth=1
	s_sleep 1
	global_store_dwordx2 v[4:5], v[2:3], off
	v_mov_b32_e32 v0, s10
	v_mov_b32_e32 v1, s11
	buffer_wbl2 sc0 sc1
	s_waitcnt vmcnt(0)
	global_atomic_cmpswap_x2 v[0:1], v6, v[0:3], s[24:25] offset:32 sc0 sc1
	s_waitcnt vmcnt(0)
	v_cmp_eq_u64_e32 vcc, v[0:1], v[2:3]
	s_or_b64 s[16:17], vcc, s[16:17]
	v_mov_b64_e32 v[2:3], v[0:1]
	s_andn2_b64 exec, exec, s[16:17]
	s_cbranch_execnz .LBB4_1443
.LBB4_1444:
	s_or_b64 exec, exec, s[14:15]
	v_mov_b32_e32 v3, 0
	global_load_dwordx2 v[0:1], v3, s[24:25] offset:16
	s_mov_b64 s[14:15], exec
	v_mbcnt_lo_u32_b32 v2, s14, 0
	v_mbcnt_hi_u32_b32 v2, s15, v2
	v_cmp_eq_u32_e32 vcc, 0, v2
	s_and_saveexec_b64 s[16:17], vcc
	s_cbranch_execz .LBB4_1446
; %bb.1445:
	s_bcnt1_i32_b64 s7, s[14:15]
	v_mov_b32_e32 v2, s7
	buffer_wbl2 sc0 sc1
	s_waitcnt vmcnt(0)
	global_atomic_add_x2 v[0:1], v[2:3], off offset:8 sc1
.LBB4_1446:
	s_or_b64 exec, exec, s[16:17]
	s_waitcnt vmcnt(0)
	global_load_dwordx2 v[2:3], v[0:1], off offset:16
	s_waitcnt vmcnt(0)
	v_cmp_eq_u64_e32 vcc, 0, v[2:3]
	s_cbranch_vccnz .LBB4_1448
; %bb.1447:
	global_load_dword v0, v[0:1], off offset:24
	v_mov_b32_e32 v1, 0
	buffer_wbl2 sc0 sc1
	s_waitcnt vmcnt(0)
	global_store_dwordx2 v[2:3], v[0:1], off sc0 sc1
	v_and_b32_e32 v0, 0xffffff, v0
	s_nop 0
	v_readfirstlane_b32 m0, v0
	s_sendmsg sendmsg(MSG_INTERRUPT)
.LBB4_1448:
	s_or_b64 exec, exec, s[12:13]
	v_lshl_add_u64 v[0:1], v[10:11], 0, v[38:39]
	s_branch .LBB4_1452
.LBB4_1449:                             ;   in Loop: Header=BB4_1452 Depth=1
	s_or_b64 exec, exec, s[12:13]
	v_readfirstlane_b32 s7, v2
	s_cmp_eq_u32 s7, 0
	s_cbranch_scc1 .LBB4_1451
; %bb.1450:                             ;   in Loop: Header=BB4_1452 Depth=1
	s_sleep 1
	s_cbranch_execnz .LBB4_1452
	s_branch .LBB4_1454
.LBB4_1451:
	s_branch .LBB4_1454
.LBB4_1452:                             ; =>This Inner Loop Header: Depth=1
	v_mov_b32_e32 v2, 1
	s_and_saveexec_b64 s[12:13], s[0:1]
	s_cbranch_execz .LBB4_1449
; %bb.1453:                             ;   in Loop: Header=BB4_1452 Depth=1
	global_load_dword v2, v[8:9], off offset:20 sc0 sc1
	s_waitcnt vmcnt(0)
	buffer_inv sc0 sc1
	v_and_b32_e32 v2, 1, v2
	s_branch .LBB4_1449
.LBB4_1454:
	global_load_dwordx2 v[0:1], v[0:1], off
	s_and_saveexec_b64 s[12:13], s[0:1]
	s_cbranch_execz .LBB4_1457
; %bb.1455:
	v_mov_b32_e32 v8, 0
	global_load_dwordx2 v[6:7], v8, s[24:25] offset:40
	global_load_dwordx2 v[10:11], v8, s[24:25] offset:24 sc0 sc1
	global_load_dwordx2 v[12:13], v8, s[24:25]
	s_mov_b64 s[0:1], 0
	s_waitcnt vmcnt(2)
	v_lshl_add_u64 v[2:3], v[6:7], 0, 1
	v_lshl_add_u64 v[14:15], v[2:3], 0, s[10:11]
	v_cmp_eq_u64_e32 vcc, 0, v[14:15]
	s_waitcnt vmcnt(1)
	v_mov_b32_e32 v4, v10
	v_cndmask_b32_e32 v3, v15, v3, vcc
	v_cndmask_b32_e32 v2, v14, v2, vcc
	v_and_b32_e32 v5, v3, v7
	v_and_b32_e32 v6, v2, v6
	v_mul_lo_u32 v5, v5, 24
	v_mul_hi_u32 v7, v6, 24
	v_mul_lo_u32 v6, v6, 24
	v_add_u32_e32 v7, v7, v5
	s_waitcnt vmcnt(0)
	v_lshl_add_u64 v[6:7], v[12:13], 0, v[6:7]
	global_store_dwordx2 v[6:7], v[10:11], off
	v_mov_b32_e32 v5, v11
	buffer_wbl2 sc0 sc1
	s_waitcnt vmcnt(0)
	global_atomic_cmpswap_x2 v[4:5], v8, v[2:5], s[24:25] offset:24 sc0 sc1
	s_waitcnt vmcnt(0)
	v_cmp_ne_u64_e32 vcc, v[4:5], v[10:11]
	s_and_b64 exec, exec, vcc
	s_cbranch_execz .LBB4_1457
.LBB4_1456:                             ; =>This Inner Loop Header: Depth=1
	s_sleep 1
	global_store_dwordx2 v[6:7], v[4:5], off
	buffer_wbl2 sc0 sc1
	s_waitcnt vmcnt(0)
	global_atomic_cmpswap_x2 v[10:11], v8, v[2:5], s[24:25] offset:24 sc0 sc1
	s_waitcnt vmcnt(0)
	v_cmp_eq_u64_e32 vcc, v[10:11], v[4:5]
	s_or_b64 s[0:1], vcc, s[0:1]
	v_mov_b64_e32 v[4:5], v[10:11]
	s_andn2_b64 exec, exec, s[0:1]
	s_cbranch_execnz .LBB4_1456
.LBB4_1457:
	s_or_b64 exec, exec, s[12:13]
.LBB4_1458:
	s_getpc_b64 s[10:11]
	s_add_u32 s10, s10, .str.2@rel32@lo+4
	s_addc_u32 s11, s11, .str.2@rel32@hi+12
	s_cmp_lg_u64 s[10:11], 0
	s_cbranch_scc0 .LBB4_1543
; %bb.1459:
	s_waitcnt vmcnt(0)
	v_and_b32_e32 v6, -3, v0
	v_mov_b32_e32 v7, v1
	s_mov_b64 s[12:13], 13
	v_mov_b32_e32 v27, 0
	v_mov_b32_e32 v4, 2
	;; [unrolled: 1-line block ×3, first 2 shown]
	s_branch .LBB4_1461
.LBB4_1460:                             ;   in Loop: Header=BB4_1461 Depth=1
	s_or_b64 exec, exec, s[18:19]
	s_sub_u32 s12, s12, s14
	s_subb_u32 s13, s13, s15
	s_add_u32 s10, s10, s14
	s_addc_u32 s11, s11, s15
	s_cmp_lg_u64 s[12:13], 0
	s_cbranch_scc0 .LBB4_1542
.LBB4_1461:                             ; =>This Loop Header: Depth=1
                                        ;     Child Loop BB4_1464 Depth 2
                                        ;     Child Loop BB4_1471 Depth 2
	;; [unrolled: 1-line block ×11, first 2 shown]
	v_cmp_lt_u64_e64 s[0:1], s[12:13], 56
	s_and_b64 s[0:1], s[0:1], exec
	v_cmp_gt_u64_e64 s[0:1], s[12:13], 7
	s_cselect_b32 s15, s13, 0
	s_cselect_b32 s14, s12, 56
	s_and_b64 vcc, exec, s[0:1]
	s_cbranch_vccnz .LBB4_1466
; %bb.1462:                             ;   in Loop: Header=BB4_1461 Depth=1
	s_mov_b64 s[0:1], 0
	s_cmp_eq_u64 s[12:13], 0
	s_waitcnt vmcnt(0)
	v_mov_b64_e32 v[8:9], 0
	s_cbranch_scc1 .LBB4_1465
; %bb.1463:                             ;   in Loop: Header=BB4_1461 Depth=1
	s_lshl_b64 s[16:17], s[14:15], 3
	s_mov_b64 s[18:19], 0
	v_mov_b64_e32 v[8:9], 0
	s_mov_b64 s[20:21], s[10:11]
.LBB4_1464:                             ;   Parent Loop BB4_1461 Depth=1
                                        ; =>  This Inner Loop Header: Depth=2
	global_load_ubyte v2, v27, s[20:21]
	s_waitcnt vmcnt(0)
	v_and_b32_e32 v26, 0xffff, v2
	v_lshlrev_b64 v[2:3], s18, v[26:27]
	s_add_u32 s18, s18, 8
	s_addc_u32 s19, s19, 0
	s_add_u32 s20, s20, 1
	s_addc_u32 s21, s21, 0
	v_or_b32_e32 v8, v2, v8
	s_cmp_lg_u32 s16, s18
	v_or_b32_e32 v9, v3, v9
	s_cbranch_scc1 .LBB4_1464
.LBB4_1465:                             ;   in Loop: Header=BB4_1461 Depth=1
	s_mov_b32 s7, 0
	s_andn2_b64 vcc, exec, s[0:1]
	s_mov_b64 s[0:1], s[10:11]
	s_cbranch_vccz .LBB4_1467
	s_branch .LBB4_1468
.LBB4_1466:                             ;   in Loop: Header=BB4_1461 Depth=1
                                        ; implicit-def: $sgpr7
	s_mov_b64 s[0:1], s[10:11]
.LBB4_1467:                             ;   in Loop: Header=BB4_1461 Depth=1
	global_load_dwordx2 v[8:9], v27, s[10:11]
	s_add_i32 s7, s14, -8
	s_add_u32 s0, s10, 8
	s_addc_u32 s1, s11, 0
.LBB4_1468:                             ;   in Loop: Header=BB4_1461 Depth=1
	s_cmp_gt_u32 s7, 7
	s_cbranch_scc1 .LBB4_1472
; %bb.1469:                             ;   in Loop: Header=BB4_1461 Depth=1
	s_cmp_eq_u32 s7, 0
	s_cbranch_scc1 .LBB4_1473
; %bb.1470:                             ;   in Loop: Header=BB4_1461 Depth=1
	s_mov_b64 s[16:17], 0
	v_mov_b64_e32 v[10:11], 0
	s_mov_b64 s[18:19], 0
.LBB4_1471:                             ;   Parent Loop BB4_1461 Depth=1
                                        ; =>  This Inner Loop Header: Depth=2
	s_add_u32 s20, s0, s18
	s_addc_u32 s21, s1, s19
	global_load_ubyte v2, v27, s[20:21]
	s_add_u32 s18, s18, 1
	s_addc_u32 s19, s19, 0
	s_waitcnt vmcnt(0)
	v_and_b32_e32 v26, 0xffff, v2
	v_lshlrev_b64 v[2:3], s16, v[26:27]
	s_add_u32 s16, s16, 8
	s_addc_u32 s17, s17, 0
	v_or_b32_e32 v10, v2, v10
	s_cmp_lg_u32 s7, s18
	v_or_b32_e32 v11, v3, v11
	s_cbranch_scc1 .LBB4_1471
	s_branch .LBB4_1474
.LBB4_1472:                             ;   in Loop: Header=BB4_1461 Depth=1
                                        ; implicit-def: $vgpr10_vgpr11
                                        ; implicit-def: $sgpr20
	s_branch .LBB4_1475
.LBB4_1473:                             ;   in Loop: Header=BB4_1461 Depth=1
	v_mov_b64_e32 v[10:11], 0
.LBB4_1474:                             ;   in Loop: Header=BB4_1461 Depth=1
	s_mov_b32 s20, 0
	s_cbranch_execnz .LBB4_1476
.LBB4_1475:                             ;   in Loop: Header=BB4_1461 Depth=1
	global_load_dwordx2 v[10:11], v27, s[0:1]
	s_add_i32 s20, s7, -8
	s_add_u32 s0, s0, 8
	s_addc_u32 s1, s1, 0
.LBB4_1476:                             ;   in Loop: Header=BB4_1461 Depth=1
	s_cmp_gt_u32 s20, 7
	s_cbranch_scc1 .LBB4_1480
; %bb.1477:                             ;   in Loop: Header=BB4_1461 Depth=1
	s_cmp_eq_u32 s20, 0
	s_cbranch_scc1 .LBB4_1481
; %bb.1478:                             ;   in Loop: Header=BB4_1461 Depth=1
	s_mov_b64 s[16:17], 0
	v_mov_b64_e32 v[12:13], 0
	s_mov_b64 s[18:19], 0
.LBB4_1479:                             ;   Parent Loop BB4_1461 Depth=1
                                        ; =>  This Inner Loop Header: Depth=2
	s_add_u32 s28, s0, s18
	s_addc_u32 s29, s1, s19
	global_load_ubyte v2, v27, s[28:29]
	s_add_u32 s18, s18, 1
	s_addc_u32 s19, s19, 0
	s_waitcnt vmcnt(0)
	v_and_b32_e32 v26, 0xffff, v2
	v_lshlrev_b64 v[2:3], s16, v[26:27]
	s_add_u32 s16, s16, 8
	s_addc_u32 s17, s17, 0
	v_or_b32_e32 v12, v2, v12
	s_cmp_lg_u32 s20, s18
	v_or_b32_e32 v13, v3, v13
	s_cbranch_scc1 .LBB4_1479
	s_branch .LBB4_1482
.LBB4_1480:                             ;   in Loop: Header=BB4_1461 Depth=1
                                        ; implicit-def: $sgpr7
	s_branch .LBB4_1483
.LBB4_1481:                             ;   in Loop: Header=BB4_1461 Depth=1
	v_mov_b64_e32 v[12:13], 0
.LBB4_1482:                             ;   in Loop: Header=BB4_1461 Depth=1
	s_mov_b32 s7, 0
	s_cbranch_execnz .LBB4_1484
.LBB4_1483:                             ;   in Loop: Header=BB4_1461 Depth=1
	global_load_dwordx2 v[12:13], v27, s[0:1]
	s_add_i32 s7, s20, -8
	s_add_u32 s0, s0, 8
	s_addc_u32 s1, s1, 0
.LBB4_1484:                             ;   in Loop: Header=BB4_1461 Depth=1
	s_cmp_gt_u32 s7, 7
	s_cbranch_scc1 .LBB4_1488
; %bb.1485:                             ;   in Loop: Header=BB4_1461 Depth=1
	s_cmp_eq_u32 s7, 0
	s_cbranch_scc1 .LBB4_1489
; %bb.1486:                             ;   in Loop: Header=BB4_1461 Depth=1
	s_mov_b64 s[16:17], 0
	v_mov_b64_e32 v[14:15], 0
	s_mov_b64 s[18:19], 0
.LBB4_1487:                             ;   Parent Loop BB4_1461 Depth=1
                                        ; =>  This Inner Loop Header: Depth=2
	s_add_u32 s20, s0, s18
	s_addc_u32 s21, s1, s19
	global_load_ubyte v2, v27, s[20:21]
	s_add_u32 s18, s18, 1
	s_addc_u32 s19, s19, 0
	s_waitcnt vmcnt(0)
	v_and_b32_e32 v26, 0xffff, v2
	v_lshlrev_b64 v[2:3], s16, v[26:27]
	s_add_u32 s16, s16, 8
	s_addc_u32 s17, s17, 0
	v_or_b32_e32 v14, v2, v14
	s_cmp_lg_u32 s7, s18
	v_or_b32_e32 v15, v3, v15
	s_cbranch_scc1 .LBB4_1487
	s_branch .LBB4_1490
.LBB4_1488:                             ;   in Loop: Header=BB4_1461 Depth=1
                                        ; implicit-def: $vgpr14_vgpr15
                                        ; implicit-def: $sgpr20
	s_branch .LBB4_1491
.LBB4_1489:                             ;   in Loop: Header=BB4_1461 Depth=1
	v_mov_b64_e32 v[14:15], 0
.LBB4_1490:                             ;   in Loop: Header=BB4_1461 Depth=1
	s_mov_b32 s20, 0
	s_cbranch_execnz .LBB4_1492
.LBB4_1491:                             ;   in Loop: Header=BB4_1461 Depth=1
	global_load_dwordx2 v[14:15], v27, s[0:1]
	s_add_i32 s20, s7, -8
	s_add_u32 s0, s0, 8
	s_addc_u32 s1, s1, 0
.LBB4_1492:                             ;   in Loop: Header=BB4_1461 Depth=1
	s_cmp_gt_u32 s20, 7
	s_cbranch_scc1 .LBB4_1496
; %bb.1493:                             ;   in Loop: Header=BB4_1461 Depth=1
	s_cmp_eq_u32 s20, 0
	s_cbranch_scc1 .LBB4_1497
; %bb.1494:                             ;   in Loop: Header=BB4_1461 Depth=1
	s_mov_b64 s[16:17], 0
	v_mov_b64_e32 v[16:17], 0
	s_mov_b64 s[18:19], 0
.LBB4_1495:                             ;   Parent Loop BB4_1461 Depth=1
                                        ; =>  This Inner Loop Header: Depth=2
	s_add_u32 s28, s0, s18
	s_addc_u32 s29, s1, s19
	global_load_ubyte v2, v27, s[28:29]
	s_add_u32 s18, s18, 1
	s_addc_u32 s19, s19, 0
	s_waitcnt vmcnt(0)
	v_and_b32_e32 v26, 0xffff, v2
	v_lshlrev_b64 v[2:3], s16, v[26:27]
	s_add_u32 s16, s16, 8
	s_addc_u32 s17, s17, 0
	v_or_b32_e32 v16, v2, v16
	s_cmp_lg_u32 s20, s18
	v_or_b32_e32 v17, v3, v17
	s_cbranch_scc1 .LBB4_1495
	s_branch .LBB4_1498
.LBB4_1496:                             ;   in Loop: Header=BB4_1461 Depth=1
                                        ; implicit-def: $sgpr7
	s_branch .LBB4_1499
.LBB4_1497:                             ;   in Loop: Header=BB4_1461 Depth=1
	v_mov_b64_e32 v[16:17], 0
.LBB4_1498:                             ;   in Loop: Header=BB4_1461 Depth=1
	s_mov_b32 s7, 0
	s_cbranch_execnz .LBB4_1500
.LBB4_1499:                             ;   in Loop: Header=BB4_1461 Depth=1
	global_load_dwordx2 v[16:17], v27, s[0:1]
	s_add_i32 s7, s20, -8
	s_add_u32 s0, s0, 8
	s_addc_u32 s1, s1, 0
.LBB4_1500:                             ;   in Loop: Header=BB4_1461 Depth=1
	s_cmp_gt_u32 s7, 7
	s_cbranch_scc1 .LBB4_1504
; %bb.1501:                             ;   in Loop: Header=BB4_1461 Depth=1
	s_cmp_eq_u32 s7, 0
	s_cbranch_scc1 .LBB4_1505
; %bb.1502:                             ;   in Loop: Header=BB4_1461 Depth=1
	s_mov_b64 s[16:17], 0
	v_mov_b64_e32 v[18:19], 0
	s_mov_b64 s[18:19], 0
.LBB4_1503:                             ;   Parent Loop BB4_1461 Depth=1
                                        ; =>  This Inner Loop Header: Depth=2
	s_add_u32 s20, s0, s18
	s_addc_u32 s21, s1, s19
	global_load_ubyte v2, v27, s[20:21]
	s_add_u32 s18, s18, 1
	s_addc_u32 s19, s19, 0
	s_waitcnt vmcnt(0)
	v_and_b32_e32 v26, 0xffff, v2
	v_lshlrev_b64 v[2:3], s16, v[26:27]
	s_add_u32 s16, s16, 8
	s_addc_u32 s17, s17, 0
	v_or_b32_e32 v18, v2, v18
	s_cmp_lg_u32 s7, s18
	v_or_b32_e32 v19, v3, v19
	s_cbranch_scc1 .LBB4_1503
	s_branch .LBB4_1506
.LBB4_1504:                             ;   in Loop: Header=BB4_1461 Depth=1
                                        ; implicit-def: $vgpr18_vgpr19
                                        ; implicit-def: $sgpr20
	s_branch .LBB4_1507
.LBB4_1505:                             ;   in Loop: Header=BB4_1461 Depth=1
	v_mov_b64_e32 v[18:19], 0
.LBB4_1506:                             ;   in Loop: Header=BB4_1461 Depth=1
	s_mov_b32 s20, 0
	s_cbranch_execnz .LBB4_1508
.LBB4_1507:                             ;   in Loop: Header=BB4_1461 Depth=1
	global_load_dwordx2 v[18:19], v27, s[0:1]
	s_add_i32 s20, s7, -8
	s_add_u32 s0, s0, 8
	s_addc_u32 s1, s1, 0
.LBB4_1508:                             ;   in Loop: Header=BB4_1461 Depth=1
	s_cmp_gt_u32 s20, 7
	s_cbranch_scc1 .LBB4_1512
; %bb.1509:                             ;   in Loop: Header=BB4_1461 Depth=1
	s_cmp_eq_u32 s20, 0
	s_cbranch_scc1 .LBB4_1513
; %bb.1510:                             ;   in Loop: Header=BB4_1461 Depth=1
	s_mov_b64 s[16:17], 0
	v_mov_b64_e32 v[20:21], 0
	s_mov_b64 s[18:19], s[0:1]
.LBB4_1511:                             ;   Parent Loop BB4_1461 Depth=1
                                        ; =>  This Inner Loop Header: Depth=2
	global_load_ubyte v2, v27, s[18:19]
	s_add_i32 s20, s20, -1
	s_waitcnt vmcnt(0)
	v_and_b32_e32 v26, 0xffff, v2
	v_lshlrev_b64 v[2:3], s16, v[26:27]
	s_add_u32 s16, s16, 8
	s_addc_u32 s17, s17, 0
	s_add_u32 s18, s18, 1
	s_addc_u32 s19, s19, 0
	v_or_b32_e32 v20, v2, v20
	s_cmp_lg_u32 s20, 0
	v_or_b32_e32 v21, v3, v21
	s_cbranch_scc1 .LBB4_1511
	s_branch .LBB4_1514
.LBB4_1512:                             ;   in Loop: Header=BB4_1461 Depth=1
	s_branch .LBB4_1515
.LBB4_1513:                             ;   in Loop: Header=BB4_1461 Depth=1
	v_mov_b64_e32 v[20:21], 0
.LBB4_1514:                             ;   in Loop: Header=BB4_1461 Depth=1
	s_cbranch_execnz .LBB4_1516
.LBB4_1515:                             ;   in Loop: Header=BB4_1461 Depth=1
	global_load_dwordx2 v[20:21], v27, s[0:1]
.LBB4_1516:                             ;   in Loop: Header=BB4_1461 Depth=1
	v_readfirstlane_b32 s0, v37
	v_mov_b64_e32 v[2:3], 0
	s_nop 0
	v_cmp_eq_u32_e64 s[0:1], s0, v37
	s_and_saveexec_b64 s[16:17], s[0:1]
	s_cbranch_execz .LBB4_1522
; %bb.1517:                             ;   in Loop: Header=BB4_1461 Depth=1
	global_load_dwordx2 v[24:25], v27, s[24:25] offset:24 sc0 sc1
	s_waitcnt vmcnt(0)
	buffer_inv sc0 sc1
	global_load_dwordx2 v[2:3], v27, s[24:25] offset:40
	global_load_dwordx2 v[22:23], v27, s[24:25]
	s_waitcnt vmcnt(1)
	v_and_b32_e32 v2, v2, v24
	v_and_b32_e32 v3, v3, v25
	v_mul_lo_u32 v3, v3, 24
	v_mul_hi_u32 v26, v2, 24
	v_add_u32_e32 v3, v26, v3
	v_mul_lo_u32 v2, v2, 24
	s_waitcnt vmcnt(0)
	v_lshl_add_u64 v[2:3], v[22:23], 0, v[2:3]
	global_load_dwordx2 v[22:23], v[2:3], off sc0 sc1
	s_waitcnt vmcnt(0)
	global_atomic_cmpswap_x2 v[2:3], v27, v[22:25], s[24:25] offset:24 sc0 sc1
	s_waitcnt vmcnt(0)
	buffer_inv sc0 sc1
	v_cmp_ne_u64_e32 vcc, v[2:3], v[24:25]
	s_and_saveexec_b64 s[18:19], vcc
	s_cbranch_execz .LBB4_1521
; %bb.1518:                             ;   in Loop: Header=BB4_1461 Depth=1
	s_mov_b64 s[20:21], 0
.LBB4_1519:                             ;   Parent Loop BB4_1461 Depth=1
                                        ; =>  This Inner Loop Header: Depth=2
	s_sleep 1
	global_load_dwordx2 v[22:23], v27, s[24:25] offset:40
	global_load_dwordx2 v[28:29], v27, s[24:25]
	v_mov_b64_e32 v[24:25], v[2:3]
	s_waitcnt vmcnt(1)
	v_and_b32_e32 v2, v22, v24
	s_waitcnt vmcnt(0)
	v_mad_u64_u32 v[2:3], s[28:29], v2, 24, v[28:29]
	v_and_b32_e32 v23, v23, v25
	v_mov_b32_e32 v22, v3
	v_mad_u64_u32 v[22:23], s[28:29], v23, 24, v[22:23]
	v_mov_b32_e32 v3, v22
	global_load_dwordx2 v[22:23], v[2:3], off sc0 sc1
	s_waitcnt vmcnt(0)
	global_atomic_cmpswap_x2 v[2:3], v27, v[22:25], s[24:25] offset:24 sc0 sc1
	s_waitcnt vmcnt(0)
	buffer_inv sc0 sc1
	v_cmp_eq_u64_e32 vcc, v[2:3], v[24:25]
	s_or_b64 s[20:21], vcc, s[20:21]
	s_andn2_b64 exec, exec, s[20:21]
	s_cbranch_execnz .LBB4_1519
; %bb.1520:                             ;   in Loop: Header=BB4_1461 Depth=1
	s_or_b64 exec, exec, s[20:21]
.LBB4_1521:                             ;   in Loop: Header=BB4_1461 Depth=1
	s_or_b64 exec, exec, s[18:19]
.LBB4_1522:                             ;   in Loop: Header=BB4_1461 Depth=1
	s_or_b64 exec, exec, s[16:17]
	global_load_dwordx2 v[28:29], v27, s[24:25] offset:40
	global_load_dwordx4 v[22:25], v27, s[24:25]
	v_readfirstlane_b32 s16, v2
	v_readfirstlane_b32 s17, v3
	s_mov_b64 s[18:19], exec
	s_waitcnt vmcnt(1)
	v_readfirstlane_b32 s20, v28
	v_readfirstlane_b32 s21, v29
	s_and_b64 s[20:21], s[16:17], s[20:21]
	s_mul_i32 s7, s21, 24
	s_mul_hi_u32 s28, s20, 24
	s_add_i32 s29, s28, s7
	s_mul_i32 s28, s20, 24
	s_waitcnt vmcnt(0)
	v_lshl_add_u64 v[28:29], v[22:23], 0, s[28:29]
	s_and_saveexec_b64 s[28:29], s[0:1]
	s_cbranch_execz .LBB4_1524
; %bb.1523:                             ;   in Loop: Header=BB4_1461 Depth=1
	v_mov_b64_e32 v[2:3], s[18:19]
	global_store_dwordx4 v[28:29], v[2:5], off offset:8
.LBB4_1524:                             ;   in Loop: Header=BB4_1461 Depth=1
	s_or_b64 exec, exec, s[28:29]
	s_lshl_b64 s[18:19], s[20:21], 12
	v_lshl_add_u64 v[2:3], v[24:25], 0, s[18:19]
	v_or_b32_e32 v24, 2, v6
	v_cmp_gt_u64_e64 vcc, s[12:13], 56
	s_lshl_b32 s7, s14, 2
	s_add_i32 s7, s7, 28
	v_cndmask_b32_e32 v6, v24, v6, vcc
	s_and_b32 s7, s7, 0x1e0
	v_and_b32_e32 v6, 0xffffff1f, v6
	v_or_b32_e32 v6, s7, v6
	v_readfirstlane_b32 s18, v2
	v_readfirstlane_b32 s19, v3
	s_nop 4
	global_store_dwordx4 v38, v[6:9], s[18:19]
	global_store_dwordx4 v38, v[10:13], s[18:19] offset:16
	global_store_dwordx4 v38, v[14:17], s[18:19] offset:32
	;; [unrolled: 1-line block ×3, first 2 shown]
	s_and_saveexec_b64 s[18:19], s[0:1]
	s_cbranch_execz .LBB4_1532
; %bb.1525:                             ;   in Loop: Header=BB4_1461 Depth=1
	global_load_dwordx2 v[14:15], v27, s[24:25] offset:32 sc0 sc1
	global_load_dwordx2 v[6:7], v27, s[24:25] offset:40
	v_mov_b32_e32 v12, s16
	v_mov_b32_e32 v13, s17
	s_waitcnt vmcnt(0)
	v_readfirstlane_b32 s20, v6
	v_readfirstlane_b32 s21, v7
	s_and_b64 s[20:21], s[20:21], s[16:17]
	s_mul_i32 s7, s21, 24
	s_mul_hi_u32 s21, s20, 24
	s_mul_i32 s20, s20, 24
	s_add_i32 s21, s21, s7
	v_lshl_add_u64 v[10:11], v[22:23], 0, s[20:21]
	global_store_dwordx2 v[10:11], v[14:15], off
	buffer_wbl2 sc0 sc1
	s_waitcnt vmcnt(0)
	global_atomic_cmpswap_x2 v[8:9], v27, v[12:15], s[24:25] offset:32 sc0 sc1
	s_waitcnt vmcnt(0)
	v_cmp_ne_u64_e32 vcc, v[8:9], v[14:15]
	s_and_saveexec_b64 s[20:21], vcc
	s_cbranch_execz .LBB4_1528
; %bb.1526:                             ;   in Loop: Header=BB4_1461 Depth=1
	s_mov_b64 s[28:29], 0
.LBB4_1527:                             ;   Parent Loop BB4_1461 Depth=1
                                        ; =>  This Inner Loop Header: Depth=2
	s_sleep 1
	global_store_dwordx2 v[10:11], v[8:9], off
	v_mov_b32_e32 v6, s16
	v_mov_b32_e32 v7, s17
	buffer_wbl2 sc0 sc1
	s_waitcnt vmcnt(0)
	global_atomic_cmpswap_x2 v[6:7], v27, v[6:9], s[24:25] offset:32 sc0 sc1
	s_waitcnt vmcnt(0)
	v_cmp_eq_u64_e32 vcc, v[6:7], v[8:9]
	s_or_b64 s[28:29], vcc, s[28:29]
	v_mov_b64_e32 v[8:9], v[6:7]
	s_andn2_b64 exec, exec, s[28:29]
	s_cbranch_execnz .LBB4_1527
.LBB4_1528:                             ;   in Loop: Header=BB4_1461 Depth=1
	s_or_b64 exec, exec, s[20:21]
	global_load_dwordx2 v[6:7], v27, s[24:25] offset:16
	s_mov_b64 s[28:29], exec
	v_mbcnt_lo_u32_b32 v8, s28, 0
	v_mbcnt_hi_u32_b32 v8, s29, v8
	v_cmp_eq_u32_e32 vcc, 0, v8
	s_and_saveexec_b64 s[20:21], vcc
	s_cbranch_execz .LBB4_1530
; %bb.1529:                             ;   in Loop: Header=BB4_1461 Depth=1
	s_bcnt1_i32_b64 s7, s[28:29]
	v_mov_b32_e32 v26, s7
	buffer_wbl2 sc0 sc1
	s_waitcnt vmcnt(0)
	global_atomic_add_x2 v[6:7], v[26:27], off offset:8 sc1
.LBB4_1530:                             ;   in Loop: Header=BB4_1461 Depth=1
	s_or_b64 exec, exec, s[20:21]
	s_waitcnt vmcnt(0)
	global_load_dwordx2 v[8:9], v[6:7], off offset:16
	s_waitcnt vmcnt(0)
	v_cmp_eq_u64_e32 vcc, 0, v[8:9]
	s_cbranch_vccnz .LBB4_1532
; %bb.1531:                             ;   in Loop: Header=BB4_1461 Depth=1
	global_load_dword v26, v[6:7], off offset:24
	s_waitcnt vmcnt(0)
	v_and_b32_e32 v6, 0xffffff, v26
	s_nop 0
	v_readfirstlane_b32 m0, v6
	buffer_wbl2 sc0 sc1
	global_store_dwordx2 v[8:9], v[26:27], off sc0 sc1
	s_sendmsg sendmsg(MSG_INTERRUPT)
.LBB4_1532:                             ;   in Loop: Header=BB4_1461 Depth=1
	s_or_b64 exec, exec, s[18:19]
	v_mov_b32_e32 v39, v27
	v_lshl_add_u64 v[2:3], v[2:3], 0, v[38:39]
	s_branch .LBB4_1536
.LBB4_1533:                             ;   in Loop: Header=BB4_1536 Depth=2
	s_or_b64 exec, exec, s[18:19]
	v_readfirstlane_b32 s7, v6
	s_cmp_eq_u32 s7, 0
	s_cbranch_scc1 .LBB4_1535
; %bb.1534:                             ;   in Loop: Header=BB4_1536 Depth=2
	s_sleep 1
	s_cbranch_execnz .LBB4_1536
	s_branch .LBB4_1538
.LBB4_1535:                             ;   in Loop: Header=BB4_1461 Depth=1
	s_branch .LBB4_1538
.LBB4_1536:                             ;   Parent Loop BB4_1461 Depth=1
                                        ; =>  This Inner Loop Header: Depth=2
	v_mov_b32_e32 v6, 1
	s_and_saveexec_b64 s[18:19], s[0:1]
	s_cbranch_execz .LBB4_1533
; %bb.1537:                             ;   in Loop: Header=BB4_1536 Depth=2
	global_load_dword v6, v[28:29], off offset:20 sc0 sc1
	s_waitcnt vmcnt(0)
	buffer_inv sc0 sc1
	v_and_b32_e32 v6, 1, v6
	s_branch .LBB4_1533
.LBB4_1538:                             ;   in Loop: Header=BB4_1461 Depth=1
	global_load_dwordx4 v[6:9], v[2:3], off
	s_and_saveexec_b64 s[18:19], s[0:1]
	s_cbranch_execz .LBB4_1460
; %bb.1539:                             ;   in Loop: Header=BB4_1461 Depth=1
	global_load_dwordx2 v[2:3], v27, s[24:25] offset:40
	global_load_dwordx2 v[12:13], v27, s[24:25] offset:24 sc0 sc1
	global_load_dwordx2 v[14:15], v27, s[24:25]
	s_waitcnt vmcnt(2)
	v_lshl_add_u64 v[8:9], v[2:3], 0, 1
	v_lshl_add_u64 v[16:17], v[8:9], 0, s[16:17]
	v_cmp_eq_u64_e32 vcc, 0, v[16:17]
	s_waitcnt vmcnt(1)
	v_mov_b32_e32 v10, v12
	v_cndmask_b32_e32 v9, v17, v9, vcc
	v_cndmask_b32_e32 v8, v16, v8, vcc
	v_and_b32_e32 v3, v9, v3
	v_and_b32_e32 v2, v8, v2
	v_mul_lo_u32 v3, v3, 24
	v_mul_hi_u32 v11, v2, 24
	v_mul_lo_u32 v2, v2, 24
	v_add_u32_e32 v3, v11, v3
	s_waitcnt vmcnt(0)
	v_lshl_add_u64 v[2:3], v[14:15], 0, v[2:3]
	global_store_dwordx2 v[2:3], v[12:13], off
	v_mov_b32_e32 v11, v13
	buffer_wbl2 sc0 sc1
	s_waitcnt vmcnt(0)
	global_atomic_cmpswap_x2 v[10:11], v27, v[8:11], s[24:25] offset:24 sc0 sc1
	s_waitcnt vmcnt(0)
	v_cmp_ne_u64_e32 vcc, v[10:11], v[12:13]
	s_and_b64 exec, exec, vcc
	s_cbranch_execz .LBB4_1460
; %bb.1540:                             ;   in Loop: Header=BB4_1461 Depth=1
	s_mov_b64 s[0:1], 0
.LBB4_1541:                             ;   Parent Loop BB4_1461 Depth=1
                                        ; =>  This Inner Loop Header: Depth=2
	s_sleep 1
	global_store_dwordx2 v[2:3], v[10:11], off
	buffer_wbl2 sc0 sc1
	s_waitcnt vmcnt(0)
	global_atomic_cmpswap_x2 v[12:13], v27, v[8:11], s[24:25] offset:24 sc0 sc1
	s_waitcnt vmcnt(0)
	v_cmp_eq_u64_e32 vcc, v[12:13], v[10:11]
	s_or_b64 s[0:1], vcc, s[0:1]
	v_mov_b64_e32 v[10:11], v[12:13]
	s_andn2_b64 exec, exec, s[0:1]
	s_cbranch_execnz .LBB4_1541
	s_branch .LBB4_1460
.LBB4_1542:
	s_mov_b64 s[0:1], 0
	s_branch .LBB4_1544
.LBB4_1543:
	s_mov_b64 s[0:1], -1
.LBB4_1544:
	s_mov_b32 s33, s4
	s_mov_b32 s34, s5
	;; [unrolled: 1-line block ×3, first 2 shown]
	s_and_b64 vcc, exec, s[0:1]
	s_cbranch_vccz .LBB4_1571
; %bb.1545:
	v_readfirstlane_b32 s0, v37
	s_waitcnt vmcnt(0)
	v_mov_b64_e32 v[8:9], 0
	v_cmp_eq_u32_e64 s[0:1], s0, v37
	s_and_saveexec_b64 s[4:5], s[0:1]
	s_cbranch_execz .LBB4_1551
; %bb.1546:
	v_mov_b32_e32 v2, 0
	global_load_dwordx2 v[6:7], v2, s[24:25] offset:24 sc0 sc1
	s_waitcnt vmcnt(0)
	buffer_inv sc0 sc1
	global_load_dwordx2 v[4:5], v2, s[24:25] offset:40
	global_load_dwordx2 v[8:9], v2, s[24:25]
	s_waitcnt vmcnt(1)
	v_and_b32_e32 v3, v4, v6
	v_and_b32_e32 v4, v5, v7
	v_mul_lo_u32 v4, v4, 24
	v_mul_hi_u32 v5, v3, 24
	v_add_u32_e32 v5, v5, v4
	v_mul_lo_u32 v4, v3, 24
	s_waitcnt vmcnt(0)
	v_lshl_add_u64 v[4:5], v[8:9], 0, v[4:5]
	global_load_dwordx2 v[4:5], v[4:5], off sc0 sc1
	s_waitcnt vmcnt(0)
	global_atomic_cmpswap_x2 v[8:9], v2, v[4:7], s[24:25] offset:24 sc0 sc1
	s_waitcnt vmcnt(0)
	buffer_inv sc0 sc1
	v_cmp_ne_u64_e32 vcc, v[8:9], v[6:7]
	s_and_saveexec_b64 s[6:7], vcc
	s_cbranch_execz .LBB4_1550
; %bb.1547:
	s_mov_b64 s[10:11], 0
.LBB4_1548:                             ; =>This Inner Loop Header: Depth=1
	s_sleep 1
	global_load_dwordx2 v[4:5], v2, s[24:25] offset:40
	global_load_dwordx2 v[10:11], v2, s[24:25]
	v_mov_b64_e32 v[6:7], v[8:9]
	s_waitcnt vmcnt(1)
	v_and_b32_e32 v4, v4, v6
	v_and_b32_e32 v3, v5, v7
	s_waitcnt vmcnt(0)
	v_mad_u64_u32 v[4:5], s[12:13], v4, 24, v[10:11]
	v_mov_b32_e32 v8, v5
	v_mad_u64_u32 v[8:9], s[12:13], v3, 24, v[8:9]
	v_mov_b32_e32 v5, v8
	global_load_dwordx2 v[4:5], v[4:5], off sc0 sc1
	s_waitcnt vmcnt(0)
	global_atomic_cmpswap_x2 v[8:9], v2, v[4:7], s[24:25] offset:24 sc0 sc1
	s_waitcnt vmcnt(0)
	buffer_inv sc0 sc1
	v_cmp_eq_u64_e32 vcc, v[8:9], v[6:7]
	s_or_b64 s[10:11], vcc, s[10:11]
	s_andn2_b64 exec, exec, s[10:11]
	s_cbranch_execnz .LBB4_1548
; %bb.1549:
	s_or_b64 exec, exec, s[10:11]
.LBB4_1550:
	s_or_b64 exec, exec, s[6:7]
.LBB4_1551:
	s_or_b64 exec, exec, s[4:5]
	v_mov_b32_e32 v2, 0
	global_load_dwordx2 v[10:11], v2, s[24:25] offset:40
	global_load_dwordx4 v[4:7], v2, s[24:25]
	v_readfirstlane_b32 s4, v8
	v_readfirstlane_b32 s5, v9
	s_mov_b64 s[6:7], exec
	s_waitcnt vmcnt(1)
	v_readfirstlane_b32 s10, v10
	v_readfirstlane_b32 s11, v11
	s_and_b64 s[10:11], s[4:5], s[10:11]
	s_mul_i32 s12, s11, 24
	s_mul_hi_u32 s13, s10, 24
	s_add_i32 s13, s13, s12
	s_mul_i32 s12, s10, 24
	s_waitcnt vmcnt(0)
	v_lshl_add_u64 v[8:9], v[4:5], 0, s[12:13]
	s_and_saveexec_b64 s[12:13], s[0:1]
	s_cbranch_execz .LBB4_1553
; %bb.1552:
	v_mov_b64_e32 v[10:11], s[6:7]
	v_mov_b32_e32 v12, 2
	v_mov_b32_e32 v13, 1
	global_store_dwordx4 v[8:9], v[10:13], off offset:8
.LBB4_1553:
	s_or_b64 exec, exec, s[12:13]
	s_lshl_b64 s[6:7], s[10:11], 12
	v_lshl_add_u64 v[6:7], v[6:7], 0, s[6:7]
	s_movk_i32 s6, 0xff1d
	s_mov_b32 s12, 0
	v_and_or_b32 v0, v0, s6, 34
	v_mov_b32_e32 v3, v2
	v_readfirstlane_b32 s6, v6
	v_readfirstlane_b32 s7, v7
	s_mov_b32 s13, s12
	s_mov_b32 s14, s12
	;; [unrolled: 1-line block ×3, first 2 shown]
	s_nop 1
	global_store_dwordx4 v38, v[0:3], s[6:7]
	s_nop 1
	v_mov_b64_e32 v[0:1], s[12:13]
	v_mov_b64_e32 v[2:3], s[14:15]
	global_store_dwordx4 v38, v[0:3], s[6:7] offset:16
	global_store_dwordx4 v38, v[0:3], s[6:7] offset:32
	;; [unrolled: 1-line block ×3, first 2 shown]
	s_and_saveexec_b64 s[6:7], s[0:1]
	s_cbranch_execz .LBB4_1561
; %bb.1554:
	v_mov_b32_e32 v6, 0
	global_load_dwordx2 v[12:13], v6, s[24:25] offset:32 sc0 sc1
	global_load_dwordx2 v[0:1], v6, s[24:25] offset:40
	v_mov_b32_e32 v10, s4
	v_mov_b32_e32 v11, s5
	s_waitcnt vmcnt(0)
	v_readfirstlane_b32 s10, v0
	v_readfirstlane_b32 s11, v1
	s_and_b64 s[10:11], s[10:11], s[4:5]
	s_mul_i32 s11, s11, 24
	s_mul_hi_u32 s12, s10, 24
	s_mul_i32 s10, s10, 24
	s_add_i32 s11, s12, s11
	v_lshl_add_u64 v[4:5], v[4:5], 0, s[10:11]
	global_store_dwordx2 v[4:5], v[12:13], off
	buffer_wbl2 sc0 sc1
	s_waitcnt vmcnt(0)
	global_atomic_cmpswap_x2 v[2:3], v6, v[10:13], s[24:25] offset:32 sc0 sc1
	s_waitcnt vmcnt(0)
	v_cmp_ne_u64_e32 vcc, v[2:3], v[12:13]
	s_and_saveexec_b64 s[10:11], vcc
	s_cbranch_execz .LBB4_1557
; %bb.1555:
	s_mov_b64 s[12:13], 0
.LBB4_1556:                             ; =>This Inner Loop Header: Depth=1
	s_sleep 1
	global_store_dwordx2 v[4:5], v[2:3], off
	v_mov_b32_e32 v0, s4
	v_mov_b32_e32 v1, s5
	buffer_wbl2 sc0 sc1
	s_waitcnt vmcnt(0)
	global_atomic_cmpswap_x2 v[0:1], v6, v[0:3], s[24:25] offset:32 sc0 sc1
	s_waitcnt vmcnt(0)
	v_cmp_eq_u64_e32 vcc, v[0:1], v[2:3]
	s_or_b64 s[12:13], vcc, s[12:13]
	v_mov_b64_e32 v[2:3], v[0:1]
	s_andn2_b64 exec, exec, s[12:13]
	s_cbranch_execnz .LBB4_1556
.LBB4_1557:
	s_or_b64 exec, exec, s[10:11]
	v_mov_b32_e32 v3, 0
	global_load_dwordx2 v[0:1], v3, s[24:25] offset:16
	s_mov_b64 s[10:11], exec
	v_mbcnt_lo_u32_b32 v2, s10, 0
	v_mbcnt_hi_u32_b32 v2, s11, v2
	v_cmp_eq_u32_e32 vcc, 0, v2
	s_and_saveexec_b64 s[12:13], vcc
	s_cbranch_execz .LBB4_1559
; %bb.1558:
	s_bcnt1_i32_b64 s10, s[10:11]
	v_mov_b32_e32 v2, s10
	buffer_wbl2 sc0 sc1
	s_waitcnt vmcnt(0)
	global_atomic_add_x2 v[0:1], v[2:3], off offset:8 sc1
.LBB4_1559:
	s_or_b64 exec, exec, s[12:13]
	s_waitcnt vmcnt(0)
	global_load_dwordx2 v[2:3], v[0:1], off offset:16
	s_waitcnt vmcnt(0)
	v_cmp_eq_u64_e32 vcc, 0, v[2:3]
	s_cbranch_vccnz .LBB4_1561
; %bb.1560:
	global_load_dword v0, v[0:1], off offset:24
	v_mov_b32_e32 v1, 0
	buffer_wbl2 sc0 sc1
	s_waitcnt vmcnt(0)
	global_store_dwordx2 v[2:3], v[0:1], off sc0 sc1
	v_and_b32_e32 v0, 0xffffff, v0
	s_nop 0
	v_readfirstlane_b32 m0, v0
	s_sendmsg sendmsg(MSG_INTERRUPT)
.LBB4_1561:
	s_or_b64 exec, exec, s[6:7]
	s_branch .LBB4_1565
.LBB4_1562:                             ;   in Loop: Header=BB4_1565 Depth=1
	s_or_b64 exec, exec, s[6:7]
	v_readfirstlane_b32 s6, v0
	s_cmp_eq_u32 s6, 0
	s_cbranch_scc1 .LBB4_1564
; %bb.1563:                             ;   in Loop: Header=BB4_1565 Depth=1
	s_sleep 1
	s_cbranch_execnz .LBB4_1565
	s_branch .LBB4_1567
.LBB4_1564:
	s_branch .LBB4_1567
.LBB4_1565:                             ; =>This Inner Loop Header: Depth=1
	v_mov_b32_e32 v0, 1
	s_and_saveexec_b64 s[6:7], s[0:1]
	s_cbranch_execz .LBB4_1562
; %bb.1566:                             ;   in Loop: Header=BB4_1565 Depth=1
	global_load_dword v0, v[8:9], off offset:20 sc0 sc1
	s_waitcnt vmcnt(0)
	buffer_inv sc0 sc1
	v_and_b32_e32 v0, 1, v0
	s_branch .LBB4_1562
.LBB4_1567:
	s_and_saveexec_b64 s[6:7], s[0:1]
	s_cbranch_execz .LBB4_1570
; %bb.1568:
	v_mov_b32_e32 v6, 0
	global_load_dwordx2 v[4:5], v6, s[24:25] offset:40
	global_load_dwordx2 v[8:9], v6, s[24:25] offset:24 sc0 sc1
	global_load_dwordx2 v[10:11], v6, s[24:25]
	s_mov_b64 s[0:1], 0
	s_waitcnt vmcnt(2)
	v_lshl_add_u64 v[0:1], v[4:5], 0, 1
	v_lshl_add_u64 v[12:13], v[0:1], 0, s[4:5]
	v_cmp_eq_u64_e32 vcc, 0, v[12:13]
	s_waitcnt vmcnt(1)
	v_mov_b32_e32 v2, v8
	v_cndmask_b32_e32 v1, v13, v1, vcc
	v_cndmask_b32_e32 v0, v12, v0, vcc
	v_and_b32_e32 v3, v1, v5
	v_and_b32_e32 v4, v0, v4
	v_mul_lo_u32 v3, v3, 24
	v_mul_hi_u32 v5, v4, 24
	v_mul_lo_u32 v4, v4, 24
	v_add_u32_e32 v5, v5, v3
	s_waitcnt vmcnt(0)
	v_lshl_add_u64 v[4:5], v[10:11], 0, v[4:5]
	global_store_dwordx2 v[4:5], v[8:9], off
	v_mov_b32_e32 v3, v9
	buffer_wbl2 sc0 sc1
	s_waitcnt vmcnt(0)
	global_atomic_cmpswap_x2 v[2:3], v6, v[0:3], s[24:25] offset:24 sc0 sc1
	s_waitcnt vmcnt(0)
	v_cmp_ne_u64_e32 vcc, v[2:3], v[8:9]
	s_and_b64 exec, exec, vcc
	s_cbranch_execz .LBB4_1570
.LBB4_1569:                             ; =>This Inner Loop Header: Depth=1
	s_sleep 1
	global_store_dwordx2 v[4:5], v[2:3], off
	buffer_wbl2 sc0 sc1
	s_waitcnt vmcnt(0)
	global_atomic_cmpswap_x2 v[8:9], v6, v[0:3], s[24:25] offset:24 sc0 sc1
	s_waitcnt vmcnt(0)
	v_cmp_eq_u64_e32 vcc, v[8:9], v[2:3]
	s_or_b64 s[0:1], vcc, s[0:1]
	v_mov_b64_e32 v[2:3], v[8:9]
	s_andn2_b64 exec, exec, s[0:1]
	s_cbranch_execnz .LBB4_1569
.LBB4_1570:
	s_or_b64 exec, exec, s[6:7]
.LBB4_1571:
	s_xor_b64 s[18:19], s[8:9], -1
	s_add_u32 s20, s2, 16
	s_addc_u32 s21, s3, 0
	s_getpc_b64 s[0:1]
	s_add_u32 s0, s0, .str@rel32@lo+4
	s_addc_u32 s1, s1, .str@rel32@hi+12
	s_mov_b64 s[8:9], s[20:21]
	s_waitcnt vmcnt(0)
	v_mov_b32_e32 v0, s0
	v_mov_b32_e32 v1, s1
	s_mov_b64 s[28:29], s[2:3]
	s_getpc_b64 s[36:37]
	s_add_u32 s36, s36, _ZNK8migraphx13basic_printerIZNS_4coutEvEUlT_E_ElsEPKc@rel32@lo+4
	s_addc_u32 s37, s37, _ZNK8migraphx13basic_printerIZNS_4coutEvEUlT_E_ElsEPKc@rel32@hi+12
	s_swappc_b64 s[30:31], s[36:37]
	s_getpc_b64 s[0:1]
	s_add_u32 s0, s0, .str.3@rel32@lo+4
	s_addc_u32 s1, s1, .str.3@rel32@hi+12
	s_mov_b64 s[8:9], s[20:21]
	v_mov_b32_e32 v0, s0
	v_mov_b32_e32 v1, s1
	s_swappc_b64 s[30:31], s[36:37]
	v_cndmask_b32_e64 v0, 0, 1, s[18:19]
	s_mov_b64 s[8:9], s[20:21]
	s_getpc_b64 s[0:1]
	s_add_u32 s0, s0, _ZN8migraphx4testlsIKNS_13basic_printerIZNS_4coutEvEUlT_E_EEEERS3_S7_RKNS0_14lhs_expressionIbNS0_3nopEEE@rel32@lo+4
	s_addc_u32 s1, s1, _ZN8migraphx4testlsIKNS_13basic_printerIZNS_4coutEvEUlT_E_EEEERS3_S7_RKNS0_14lhs_expressionIbNS0_3nopEEE@rel32@hi+12
	s_swappc_b64 s[30:31], s[0:1]
	s_getpc_b64 s[0:1]
	s_add_u32 s0, s0, .str.4@rel32@lo+4
	s_addc_u32 s1, s1, .str.4@rel32@hi+12
	s_mov_b64 s[8:9], s[20:21]
	v_mov_b32_e32 v0, s0
	v_mov_b32_e32 v1, s1
	s_swappc_b64 s[30:31], s[36:37]
	v_readfirstlane_b32 s0, v37
	v_mov_b64_e32 v[4:5], 0
	s_nop 0
	v_cmp_eq_u32_e64 s[0:1], s0, v37
	s_and_saveexec_b64 s[2:3], s[0:1]
	s_mov_b32 s6, s35
	s_mov_b32 s5, s34
	s_mov_b32 s4, s33
	s_cbranch_execz .LBB4_1577
; %bb.1572:
	v_mov_b32_e32 v0, 0
	global_load_dwordx2 v[6:7], v0, s[24:25] offset:24 sc0 sc1
	s_waitcnt vmcnt(0)
	buffer_inv sc0 sc1
	global_load_dwordx2 v[2:3], v0, s[24:25] offset:40
	global_load_dwordx2 v[4:5], v0, s[24:25]
	s_waitcnt vmcnt(1)
	v_and_b32_e32 v1, v2, v6
	v_and_b32_e32 v2, v3, v7
	v_mul_lo_u32 v2, v2, 24
	v_mul_hi_u32 v3, v1, 24
	v_add_u32_e32 v3, v3, v2
	v_mul_lo_u32 v2, v1, 24
	s_waitcnt vmcnt(0)
	v_lshl_add_u64 v[2:3], v[4:5], 0, v[2:3]
	global_load_dwordx2 v[4:5], v[2:3], off sc0 sc1
	s_waitcnt vmcnt(0)
	global_atomic_cmpswap_x2 v[4:5], v0, v[4:7], s[24:25] offset:24 sc0 sc1
	s_waitcnt vmcnt(0)
	buffer_inv sc0 sc1
	v_cmp_ne_u64_e32 vcc, v[4:5], v[6:7]
	s_and_saveexec_b64 s[8:9], vcc
	s_cbranch_execz .LBB4_1576
; %bb.1573:
	s_mov_b64 s[10:11], 0
.LBB4_1574:                             ; =>This Inner Loop Header: Depth=1
	s_sleep 1
	global_load_dwordx2 v[2:3], v0, s[24:25] offset:40
	global_load_dwordx2 v[8:9], v0, s[24:25]
	v_mov_b64_e32 v[6:7], v[4:5]
	s_waitcnt vmcnt(1)
	v_and_b32_e32 v2, v2, v6
	v_and_b32_e32 v1, v3, v7
	s_waitcnt vmcnt(0)
	v_mad_u64_u32 v[2:3], s[12:13], v2, 24, v[8:9]
	v_mov_b32_e32 v4, v3
	v_mad_u64_u32 v[4:5], s[12:13], v1, 24, v[4:5]
	v_mov_b32_e32 v3, v4
	global_load_dwordx2 v[4:5], v[2:3], off sc0 sc1
	s_waitcnt vmcnt(0)
	global_atomic_cmpswap_x2 v[4:5], v0, v[4:7], s[24:25] offset:24 sc0 sc1
	s_waitcnt vmcnt(0)
	buffer_inv sc0 sc1
	v_cmp_eq_u64_e32 vcc, v[4:5], v[6:7]
	s_or_b64 s[10:11], vcc, s[10:11]
	s_andn2_b64 exec, exec, s[10:11]
	s_cbranch_execnz .LBB4_1574
; %bb.1575:
	s_or_b64 exec, exec, s[10:11]
.LBB4_1576:
	s_or_b64 exec, exec, s[8:9]
.LBB4_1577:
	s_or_b64 exec, exec, s[2:3]
	v_mov_b32_e32 v39, 0
	global_load_dwordx2 v[6:7], v39, s[24:25] offset:40
	global_load_dwordx4 v[0:3], v39, s[24:25]
	v_readfirstlane_b32 s8, v4
	v_readfirstlane_b32 s9, v5
	s_mov_b64 s[2:3], exec
	s_waitcnt vmcnt(1)
	v_readfirstlane_b32 s10, v6
	v_readfirstlane_b32 s11, v7
	s_and_b64 s[10:11], s[8:9], s[10:11]
	s_mul_i32 s7, s11, 24
	s_mul_hi_u32 s12, s10, 24
	s_add_i32 s13, s12, s7
	s_mul_i32 s12, s10, 24
	s_waitcnt vmcnt(0)
	v_lshl_add_u64 v[4:5], v[0:1], 0, s[12:13]
	s_and_saveexec_b64 s[12:13], s[0:1]
	s_cbranch_execz .LBB4_1579
; %bb.1578:
	v_mov_b64_e32 v[6:7], s[2:3]
	v_mov_b32_e32 v8, 2
	v_mov_b32_e32 v9, 1
	global_store_dwordx4 v[4:5], v[6:9], off offset:8
.LBB4_1579:
	s_or_b64 exec, exec, s[12:13]
	s_lshl_b64 s[2:3], s[10:11], 12
	v_lshl_add_u64 v[6:7], v[2:3], 0, s[2:3]
	s_mov_b32 s12, 0
	v_mov_b32_e32 v8, 33
	v_mov_b32_e32 v9, v39
	;; [unrolled: 1-line block ×4, first 2 shown]
	v_readfirstlane_b32 s2, v6
	v_readfirstlane_b32 s3, v7
	s_mov_b32 s13, s12
	s_mov_b32 s14, s12
	;; [unrolled: 1-line block ×3, first 2 shown]
	s_nop 1
	global_store_dwordx4 v38, v[8:11], s[2:3]
	s_nop 1
	v_mov_b64_e32 v[8:9], s[12:13]
	v_mov_b64_e32 v[10:11], s[14:15]
	global_store_dwordx4 v38, v[8:11], s[2:3] offset:16
	global_store_dwordx4 v38, v[8:11], s[2:3] offset:32
	;; [unrolled: 1-line block ×3, first 2 shown]
	s_and_saveexec_b64 s[10:11], s[0:1]
	s_mov_b64 s[2:3], s[28:29]
	s_cbranch_execz .LBB4_1587
; %bb.1580:
	v_mov_b32_e32 v10, 0
	global_load_dwordx2 v[14:15], v10, s[24:25] offset:32 sc0 sc1
	global_load_dwordx2 v[2:3], v10, s[24:25] offset:40
	v_mov_b32_e32 v12, s8
	v_mov_b32_e32 v13, s9
	s_waitcnt vmcnt(0)
	v_readfirstlane_b32 s12, v2
	v_readfirstlane_b32 s13, v3
	s_and_b64 s[12:13], s[12:13], s[8:9]
	s_mul_i32 s7, s13, 24
	s_mul_hi_u32 s13, s12, 24
	s_mul_i32 s12, s12, 24
	s_add_i32 s13, s13, s7
	v_lshl_add_u64 v[8:9], v[0:1], 0, s[12:13]
	global_store_dwordx2 v[8:9], v[14:15], off
	buffer_wbl2 sc0 sc1
	s_waitcnt vmcnt(0)
	global_atomic_cmpswap_x2 v[2:3], v10, v[12:15], s[24:25] offset:32 sc0 sc1
	s_waitcnt vmcnt(0)
	v_cmp_ne_u64_e32 vcc, v[2:3], v[14:15]
	s_and_saveexec_b64 s[12:13], vcc
	s_cbranch_execz .LBB4_1583
; %bb.1581:
	s_mov_b64 s[14:15], 0
.LBB4_1582:                             ; =>This Inner Loop Header: Depth=1
	s_sleep 1
	global_store_dwordx2 v[8:9], v[2:3], off
	v_mov_b32_e32 v0, s8
	v_mov_b32_e32 v1, s9
	buffer_wbl2 sc0 sc1
	s_waitcnt vmcnt(0)
	global_atomic_cmpswap_x2 v[0:1], v10, v[0:3], s[24:25] offset:32 sc0 sc1
	s_waitcnt vmcnt(0)
	v_cmp_eq_u64_e32 vcc, v[0:1], v[2:3]
	s_or_b64 s[14:15], vcc, s[14:15]
	v_mov_b64_e32 v[2:3], v[0:1]
	s_andn2_b64 exec, exec, s[14:15]
	s_cbranch_execnz .LBB4_1582
.LBB4_1583:
	s_or_b64 exec, exec, s[12:13]
	v_mov_b32_e32 v3, 0
	global_load_dwordx2 v[0:1], v3, s[24:25] offset:16
	s_mov_b64 s[12:13], exec
	v_mbcnt_lo_u32_b32 v2, s12, 0
	v_mbcnt_hi_u32_b32 v2, s13, v2
	v_cmp_eq_u32_e32 vcc, 0, v2
	s_and_saveexec_b64 s[14:15], vcc
	s_cbranch_execz .LBB4_1585
; %bb.1584:
	s_bcnt1_i32_b64 s7, s[12:13]
	v_mov_b32_e32 v2, s7
	buffer_wbl2 sc0 sc1
	s_waitcnt vmcnt(0)
	global_atomic_add_x2 v[0:1], v[2:3], off offset:8 sc1
.LBB4_1585:
	s_or_b64 exec, exec, s[14:15]
	s_waitcnt vmcnt(0)
	global_load_dwordx2 v[2:3], v[0:1], off offset:16
	s_waitcnt vmcnt(0)
	v_cmp_eq_u64_e32 vcc, 0, v[2:3]
	s_cbranch_vccnz .LBB4_1587
; %bb.1586:
	global_load_dword v0, v[0:1], off offset:24
	v_mov_b32_e32 v1, 0
	buffer_wbl2 sc0 sc1
	s_waitcnt vmcnt(0)
	global_store_dwordx2 v[2:3], v[0:1], off sc0 sc1
	v_and_b32_e32 v0, 0xffffff, v0
	s_nop 0
	v_readfirstlane_b32 m0, v0
	s_sendmsg sendmsg(MSG_INTERRUPT)
.LBB4_1587:
	s_or_b64 exec, exec, s[10:11]
	v_lshl_add_u64 v[0:1], v[6:7], 0, v[38:39]
	s_branch .LBB4_1591
.LBB4_1588:                             ;   in Loop: Header=BB4_1591 Depth=1
	s_or_b64 exec, exec, s[10:11]
	v_readfirstlane_b32 s7, v2
	s_cmp_eq_u32 s7, 0
	s_cbranch_scc1 .LBB4_1590
; %bb.1589:                             ;   in Loop: Header=BB4_1591 Depth=1
	s_sleep 1
	s_cbranch_execnz .LBB4_1591
	s_branch .LBB4_1593
.LBB4_1590:
	s_branch .LBB4_1593
.LBB4_1591:                             ; =>This Inner Loop Header: Depth=1
	v_mov_b32_e32 v2, 1
	s_and_saveexec_b64 s[10:11], s[0:1]
	s_cbranch_execz .LBB4_1588
; %bb.1592:                             ;   in Loop: Header=BB4_1591 Depth=1
	global_load_dword v2, v[4:5], off offset:20 sc0 sc1
	s_waitcnt vmcnt(0)
	buffer_inv sc0 sc1
	v_and_b32_e32 v2, 1, v2
	s_branch .LBB4_1588
.LBB4_1593:
	global_load_dwordx2 v[0:1], v[0:1], off
	s_and_saveexec_b64 s[10:11], s[0:1]
	s_cbranch_execz .LBB4_1596
; %bb.1594:
	v_mov_b32_e32 v8, 0
	global_load_dwordx2 v[6:7], v8, s[24:25] offset:40
	global_load_dwordx2 v[10:11], v8, s[24:25] offset:24 sc0 sc1
	global_load_dwordx2 v[12:13], v8, s[24:25]
	s_mov_b64 s[0:1], 0
	s_waitcnt vmcnt(2)
	v_lshl_add_u64 v[2:3], v[6:7], 0, 1
	v_lshl_add_u64 v[14:15], v[2:3], 0, s[8:9]
	v_cmp_eq_u64_e32 vcc, 0, v[14:15]
	s_waitcnt vmcnt(1)
	v_mov_b32_e32 v4, v10
	v_cndmask_b32_e32 v3, v15, v3, vcc
	v_cndmask_b32_e32 v2, v14, v2, vcc
	v_and_b32_e32 v5, v3, v7
	v_and_b32_e32 v6, v2, v6
	v_mul_lo_u32 v5, v5, 24
	v_mul_hi_u32 v7, v6, 24
	v_mul_lo_u32 v6, v6, 24
	v_add_u32_e32 v7, v7, v5
	s_waitcnt vmcnt(0)
	v_lshl_add_u64 v[6:7], v[12:13], 0, v[6:7]
	global_store_dwordx2 v[6:7], v[10:11], off
	v_mov_b32_e32 v5, v11
	buffer_wbl2 sc0 sc1
	s_waitcnt vmcnt(0)
	global_atomic_cmpswap_x2 v[4:5], v8, v[2:5], s[24:25] offset:24 sc0 sc1
	s_waitcnt vmcnt(0)
	v_cmp_ne_u64_e32 vcc, v[4:5], v[10:11]
	s_and_b64 exec, exec, vcc
	s_cbranch_execz .LBB4_1596
.LBB4_1595:                             ; =>This Inner Loop Header: Depth=1
	s_sleep 1
	global_store_dwordx2 v[6:7], v[4:5], off
	buffer_wbl2 sc0 sc1
	s_waitcnt vmcnt(0)
	global_atomic_cmpswap_x2 v[10:11], v8, v[2:5], s[24:25] offset:24 sc0 sc1
	s_waitcnt vmcnt(0)
	v_cmp_eq_u64_e32 vcc, v[10:11], v[4:5]
	s_or_b64 s[0:1], vcc, s[0:1]
	v_mov_b64_e32 v[4:5], v[10:11]
	s_andn2_b64 exec, exec, s[0:1]
	s_cbranch_execnz .LBB4_1595
.LBB4_1596:
	s_or_b64 exec, exec, s[10:11]
	s_and_b64 vcc, exec, s[26:27]
	s_cbranch_vccz .LBB4_1681
; %bb.1597:
	s_waitcnt vmcnt(0)
	v_and_b32_e32 v28, 2, v0
	v_mov_b32_e32 v31, 0
	v_and_b32_e32 v2, -3, v0
	v_mov_b32_e32 v3, v1
	s_mov_b64 s[10:11], 3
	v_mov_b32_e32 v6, 2
	v_mov_b32_e32 v7, 1
	s_getpc_b64 s[8:9]
	s_add_u32 s8, s8, .str.6@rel32@lo+4
	s_addc_u32 s9, s9, .str.6@rel32@hi+12
	s_branch .LBB4_1599
.LBB4_1598:                             ;   in Loop: Header=BB4_1599 Depth=1
	s_or_b64 exec, exec, s[16:17]
	s_sub_u32 s10, s10, s12
	s_subb_u32 s11, s11, s13
	s_add_u32 s8, s8, s12
	s_addc_u32 s9, s9, s13
	s_cmp_lg_u64 s[10:11], 0
	s_cbranch_scc0 .LBB4_1680
.LBB4_1599:                             ; =>This Loop Header: Depth=1
                                        ;     Child Loop BB4_1602 Depth 2
                                        ;     Child Loop BB4_1609 Depth 2
	;; [unrolled: 1-line block ×11, first 2 shown]
	v_cmp_lt_u64_e64 s[0:1], s[10:11], 56
	s_and_b64 s[0:1], s[0:1], exec
	v_cmp_gt_u64_e64 s[0:1], s[10:11], 7
	s_cselect_b32 s13, s11, 0
	s_cselect_b32 s12, s10, 56
	s_and_b64 vcc, exec, s[0:1]
	s_cbranch_vccnz .LBB4_1604
; %bb.1600:                             ;   in Loop: Header=BB4_1599 Depth=1
	s_mov_b64 s[0:1], 0
	s_cmp_eq_u64 s[10:11], 0
	v_mov_b64_e32 v[10:11], 0
	s_cbranch_scc1 .LBB4_1603
; %bb.1601:                             ;   in Loop: Header=BB4_1599 Depth=1
	s_lshl_b64 s[14:15], s[12:13], 3
	s_mov_b64 s[16:17], 0
	v_mov_b64_e32 v[10:11], 0
	s_mov_b64 s[18:19], s[8:9]
.LBB4_1602:                             ;   Parent Loop BB4_1599 Depth=1
                                        ; =>  This Inner Loop Header: Depth=2
	global_load_ubyte v4, v31, s[18:19]
	s_waitcnt vmcnt(0)
	v_and_b32_e32 v30, 0xffff, v4
	v_lshlrev_b64 v[4:5], s16, v[30:31]
	s_add_u32 s16, s16, 8
	s_addc_u32 s17, s17, 0
	s_add_u32 s18, s18, 1
	s_addc_u32 s19, s19, 0
	v_or_b32_e32 v10, v4, v10
	s_cmp_lg_u32 s14, s16
	v_or_b32_e32 v11, v5, v11
	s_cbranch_scc1 .LBB4_1602
.LBB4_1603:                             ;   in Loop: Header=BB4_1599 Depth=1
	s_mov_b32 s7, 0
	s_andn2_b64 vcc, exec, s[0:1]
	s_mov_b64 s[0:1], s[8:9]
	s_cbranch_vccz .LBB4_1605
	s_branch .LBB4_1606
.LBB4_1604:                             ;   in Loop: Header=BB4_1599 Depth=1
                                        ; implicit-def: $vgpr10_vgpr11
                                        ; implicit-def: $sgpr7
	s_mov_b64 s[0:1], s[8:9]
.LBB4_1605:                             ;   in Loop: Header=BB4_1599 Depth=1
	global_load_dwordx2 v[10:11], v31, s[8:9]
	s_add_i32 s7, s12, -8
	s_add_u32 s0, s8, 8
	s_addc_u32 s1, s9, 0
.LBB4_1606:                             ;   in Loop: Header=BB4_1599 Depth=1
	s_cmp_gt_u32 s7, 7
	s_cbranch_scc1 .LBB4_1610
; %bb.1607:                             ;   in Loop: Header=BB4_1599 Depth=1
	s_cmp_eq_u32 s7, 0
	s_cbranch_scc1 .LBB4_1611
; %bb.1608:                             ;   in Loop: Header=BB4_1599 Depth=1
	s_mov_b64 s[14:15], 0
	v_mov_b64_e32 v[12:13], 0
	s_mov_b64 s[16:17], 0
.LBB4_1609:                             ;   Parent Loop BB4_1599 Depth=1
                                        ; =>  This Inner Loop Header: Depth=2
	s_add_u32 s18, s0, s16
	s_addc_u32 s19, s1, s17
	global_load_ubyte v4, v31, s[18:19]
	s_add_u32 s16, s16, 1
	s_addc_u32 s17, s17, 0
	s_waitcnt vmcnt(0)
	v_and_b32_e32 v30, 0xffff, v4
	v_lshlrev_b64 v[4:5], s14, v[30:31]
	s_add_u32 s14, s14, 8
	s_addc_u32 s15, s15, 0
	v_or_b32_e32 v12, v4, v12
	s_cmp_lg_u32 s7, s16
	v_or_b32_e32 v13, v5, v13
	s_cbranch_scc1 .LBB4_1609
	s_branch .LBB4_1612
.LBB4_1610:                             ;   in Loop: Header=BB4_1599 Depth=1
                                        ; implicit-def: $vgpr12_vgpr13
                                        ; implicit-def: $sgpr18
	s_branch .LBB4_1613
.LBB4_1611:                             ;   in Loop: Header=BB4_1599 Depth=1
	v_mov_b64_e32 v[12:13], 0
.LBB4_1612:                             ;   in Loop: Header=BB4_1599 Depth=1
	s_mov_b32 s18, 0
	s_cbranch_execnz .LBB4_1614
.LBB4_1613:                             ;   in Loop: Header=BB4_1599 Depth=1
	global_load_dwordx2 v[12:13], v31, s[0:1]
	s_add_i32 s18, s7, -8
	s_add_u32 s0, s0, 8
	s_addc_u32 s1, s1, 0
.LBB4_1614:                             ;   in Loop: Header=BB4_1599 Depth=1
	s_cmp_gt_u32 s18, 7
	s_cbranch_scc1 .LBB4_1618
; %bb.1615:                             ;   in Loop: Header=BB4_1599 Depth=1
	s_cmp_eq_u32 s18, 0
	s_cbranch_scc1 .LBB4_1619
; %bb.1616:                             ;   in Loop: Header=BB4_1599 Depth=1
	s_mov_b64 s[14:15], 0
	v_mov_b64_e32 v[14:15], 0
	s_mov_b64 s[16:17], 0
.LBB4_1617:                             ;   Parent Loop BB4_1599 Depth=1
                                        ; =>  This Inner Loop Header: Depth=2
	s_add_u32 s20, s0, s16
	s_addc_u32 s21, s1, s17
	global_load_ubyte v4, v31, s[20:21]
	s_add_u32 s16, s16, 1
	s_addc_u32 s17, s17, 0
	s_waitcnt vmcnt(0)
	v_and_b32_e32 v30, 0xffff, v4
	v_lshlrev_b64 v[4:5], s14, v[30:31]
	s_add_u32 s14, s14, 8
	s_addc_u32 s15, s15, 0
	v_or_b32_e32 v14, v4, v14
	s_cmp_lg_u32 s18, s16
	v_or_b32_e32 v15, v5, v15
	s_cbranch_scc1 .LBB4_1617
	s_branch .LBB4_1620
.LBB4_1618:                             ;   in Loop: Header=BB4_1599 Depth=1
                                        ; implicit-def: $sgpr7
	s_branch .LBB4_1621
.LBB4_1619:                             ;   in Loop: Header=BB4_1599 Depth=1
	v_mov_b64_e32 v[14:15], 0
.LBB4_1620:                             ;   in Loop: Header=BB4_1599 Depth=1
	s_mov_b32 s7, 0
	s_cbranch_execnz .LBB4_1622
.LBB4_1621:                             ;   in Loop: Header=BB4_1599 Depth=1
	global_load_dwordx2 v[14:15], v31, s[0:1]
	s_add_i32 s7, s18, -8
	s_add_u32 s0, s0, 8
	s_addc_u32 s1, s1, 0
.LBB4_1622:                             ;   in Loop: Header=BB4_1599 Depth=1
	s_cmp_gt_u32 s7, 7
	s_cbranch_scc1 .LBB4_1626
; %bb.1623:                             ;   in Loop: Header=BB4_1599 Depth=1
	s_cmp_eq_u32 s7, 0
	s_cbranch_scc1 .LBB4_1627
; %bb.1624:                             ;   in Loop: Header=BB4_1599 Depth=1
	s_mov_b64 s[14:15], 0
	v_mov_b64_e32 v[16:17], 0
	s_mov_b64 s[16:17], 0
.LBB4_1625:                             ;   Parent Loop BB4_1599 Depth=1
                                        ; =>  This Inner Loop Header: Depth=2
	s_add_u32 s18, s0, s16
	s_addc_u32 s19, s1, s17
	global_load_ubyte v4, v31, s[18:19]
	s_add_u32 s16, s16, 1
	s_addc_u32 s17, s17, 0
	s_waitcnt vmcnt(0)
	v_and_b32_e32 v30, 0xffff, v4
	v_lshlrev_b64 v[4:5], s14, v[30:31]
	s_add_u32 s14, s14, 8
	s_addc_u32 s15, s15, 0
	v_or_b32_e32 v16, v4, v16
	s_cmp_lg_u32 s7, s16
	v_or_b32_e32 v17, v5, v17
	s_cbranch_scc1 .LBB4_1625
	s_branch .LBB4_1628
.LBB4_1626:                             ;   in Loop: Header=BB4_1599 Depth=1
                                        ; implicit-def: $vgpr16_vgpr17
                                        ; implicit-def: $sgpr18
	s_branch .LBB4_1629
.LBB4_1627:                             ;   in Loop: Header=BB4_1599 Depth=1
	v_mov_b64_e32 v[16:17], 0
.LBB4_1628:                             ;   in Loop: Header=BB4_1599 Depth=1
	s_mov_b32 s18, 0
	s_cbranch_execnz .LBB4_1630
.LBB4_1629:                             ;   in Loop: Header=BB4_1599 Depth=1
	global_load_dwordx2 v[16:17], v31, s[0:1]
	s_add_i32 s18, s7, -8
	s_add_u32 s0, s0, 8
	s_addc_u32 s1, s1, 0
.LBB4_1630:                             ;   in Loop: Header=BB4_1599 Depth=1
	s_cmp_gt_u32 s18, 7
	s_cbranch_scc1 .LBB4_1634
; %bb.1631:                             ;   in Loop: Header=BB4_1599 Depth=1
	s_cmp_eq_u32 s18, 0
	s_cbranch_scc1 .LBB4_1635
; %bb.1632:                             ;   in Loop: Header=BB4_1599 Depth=1
	s_mov_b64 s[14:15], 0
	v_mov_b64_e32 v[18:19], 0
	s_mov_b64 s[16:17], 0
.LBB4_1633:                             ;   Parent Loop BB4_1599 Depth=1
                                        ; =>  This Inner Loop Header: Depth=2
	s_add_u32 s20, s0, s16
	s_addc_u32 s21, s1, s17
	global_load_ubyte v4, v31, s[20:21]
	s_add_u32 s16, s16, 1
	s_addc_u32 s17, s17, 0
	s_waitcnt vmcnt(0)
	v_and_b32_e32 v30, 0xffff, v4
	v_lshlrev_b64 v[4:5], s14, v[30:31]
	s_add_u32 s14, s14, 8
	s_addc_u32 s15, s15, 0
	v_or_b32_e32 v18, v4, v18
	s_cmp_lg_u32 s18, s16
	v_or_b32_e32 v19, v5, v19
	s_cbranch_scc1 .LBB4_1633
	s_branch .LBB4_1636
.LBB4_1634:                             ;   in Loop: Header=BB4_1599 Depth=1
                                        ; implicit-def: $sgpr7
	s_branch .LBB4_1637
.LBB4_1635:                             ;   in Loop: Header=BB4_1599 Depth=1
	v_mov_b64_e32 v[18:19], 0
.LBB4_1636:                             ;   in Loop: Header=BB4_1599 Depth=1
	s_mov_b32 s7, 0
	s_cbranch_execnz .LBB4_1638
.LBB4_1637:                             ;   in Loop: Header=BB4_1599 Depth=1
	global_load_dwordx2 v[18:19], v31, s[0:1]
	s_add_i32 s7, s18, -8
	s_add_u32 s0, s0, 8
	s_addc_u32 s1, s1, 0
.LBB4_1638:                             ;   in Loop: Header=BB4_1599 Depth=1
	s_cmp_gt_u32 s7, 7
	s_cbranch_scc1 .LBB4_1642
; %bb.1639:                             ;   in Loop: Header=BB4_1599 Depth=1
	s_cmp_eq_u32 s7, 0
	s_cbranch_scc1 .LBB4_1643
; %bb.1640:                             ;   in Loop: Header=BB4_1599 Depth=1
	s_mov_b64 s[14:15], 0
	v_mov_b64_e32 v[20:21], 0
	s_mov_b64 s[16:17], 0
.LBB4_1641:                             ;   Parent Loop BB4_1599 Depth=1
                                        ; =>  This Inner Loop Header: Depth=2
	s_add_u32 s18, s0, s16
	s_addc_u32 s19, s1, s17
	global_load_ubyte v4, v31, s[18:19]
	s_add_u32 s16, s16, 1
	s_addc_u32 s17, s17, 0
	s_waitcnt vmcnt(0)
	v_and_b32_e32 v30, 0xffff, v4
	v_lshlrev_b64 v[4:5], s14, v[30:31]
	s_add_u32 s14, s14, 8
	s_addc_u32 s15, s15, 0
	v_or_b32_e32 v20, v4, v20
	s_cmp_lg_u32 s7, s16
	v_or_b32_e32 v21, v5, v21
	s_cbranch_scc1 .LBB4_1641
	s_branch .LBB4_1644
.LBB4_1642:                             ;   in Loop: Header=BB4_1599 Depth=1
                                        ; implicit-def: $vgpr20_vgpr21
                                        ; implicit-def: $sgpr18
	s_branch .LBB4_1645
.LBB4_1643:                             ;   in Loop: Header=BB4_1599 Depth=1
	v_mov_b64_e32 v[20:21], 0
.LBB4_1644:                             ;   in Loop: Header=BB4_1599 Depth=1
	s_mov_b32 s18, 0
	s_cbranch_execnz .LBB4_1646
.LBB4_1645:                             ;   in Loop: Header=BB4_1599 Depth=1
	global_load_dwordx2 v[20:21], v31, s[0:1]
	s_add_i32 s18, s7, -8
	s_add_u32 s0, s0, 8
	s_addc_u32 s1, s1, 0
.LBB4_1646:                             ;   in Loop: Header=BB4_1599 Depth=1
	s_cmp_gt_u32 s18, 7
	s_cbranch_scc1 .LBB4_1650
; %bb.1647:                             ;   in Loop: Header=BB4_1599 Depth=1
	s_cmp_eq_u32 s18, 0
	s_cbranch_scc1 .LBB4_1651
; %bb.1648:                             ;   in Loop: Header=BB4_1599 Depth=1
	s_mov_b64 s[14:15], 0
	v_mov_b64_e32 v[22:23], 0
	s_mov_b64 s[16:17], s[0:1]
.LBB4_1649:                             ;   Parent Loop BB4_1599 Depth=1
                                        ; =>  This Inner Loop Header: Depth=2
	global_load_ubyte v4, v31, s[16:17]
	s_add_i32 s18, s18, -1
	s_waitcnt vmcnt(0)
	v_and_b32_e32 v30, 0xffff, v4
	v_lshlrev_b64 v[4:5], s14, v[30:31]
	s_add_u32 s14, s14, 8
	s_addc_u32 s15, s15, 0
	s_add_u32 s16, s16, 1
	s_addc_u32 s17, s17, 0
	v_or_b32_e32 v22, v4, v22
	s_cmp_lg_u32 s18, 0
	v_or_b32_e32 v23, v5, v23
	s_cbranch_scc1 .LBB4_1649
	s_branch .LBB4_1652
.LBB4_1650:                             ;   in Loop: Header=BB4_1599 Depth=1
	s_branch .LBB4_1653
.LBB4_1651:                             ;   in Loop: Header=BB4_1599 Depth=1
	v_mov_b64_e32 v[22:23], 0
.LBB4_1652:                             ;   in Loop: Header=BB4_1599 Depth=1
	s_cbranch_execnz .LBB4_1654
.LBB4_1653:                             ;   in Loop: Header=BB4_1599 Depth=1
	global_load_dwordx2 v[22:23], v31, s[0:1]
.LBB4_1654:                             ;   in Loop: Header=BB4_1599 Depth=1
	v_readfirstlane_b32 s0, v37
	s_waitcnt vmcnt(0)
	v_mov_b64_e32 v[4:5], 0
	v_cmp_eq_u32_e64 s[0:1], s0, v37
	s_and_saveexec_b64 s[14:15], s[0:1]
	s_cbranch_execz .LBB4_1660
; %bb.1655:                             ;   in Loop: Header=BB4_1599 Depth=1
	global_load_dwordx2 v[26:27], v31, s[24:25] offset:24 sc0 sc1
	s_waitcnt vmcnt(0)
	buffer_inv sc0 sc1
	global_load_dwordx2 v[4:5], v31, s[24:25] offset:40
	global_load_dwordx2 v[8:9], v31, s[24:25]
	s_waitcnt vmcnt(1)
	v_and_b32_e32 v4, v4, v26
	v_and_b32_e32 v5, v5, v27
	v_mul_lo_u32 v5, v5, 24
	v_mul_hi_u32 v24, v4, 24
	v_add_u32_e32 v5, v24, v5
	v_mul_lo_u32 v4, v4, 24
	s_waitcnt vmcnt(0)
	v_lshl_add_u64 v[4:5], v[8:9], 0, v[4:5]
	global_load_dwordx2 v[24:25], v[4:5], off sc0 sc1
	s_waitcnt vmcnt(0)
	global_atomic_cmpswap_x2 v[4:5], v31, v[24:27], s[24:25] offset:24 sc0 sc1
	s_waitcnt vmcnt(0)
	buffer_inv sc0 sc1
	v_cmp_ne_u64_e32 vcc, v[4:5], v[26:27]
	s_and_saveexec_b64 s[16:17], vcc
	s_cbranch_execz .LBB4_1659
; %bb.1656:                             ;   in Loop: Header=BB4_1599 Depth=1
	s_mov_b64 s[18:19], 0
.LBB4_1657:                             ;   Parent Loop BB4_1599 Depth=1
                                        ; =>  This Inner Loop Header: Depth=2
	s_sleep 1
	global_load_dwordx2 v[8:9], v31, s[24:25] offset:40
	global_load_dwordx2 v[24:25], v31, s[24:25]
	v_mov_b64_e32 v[26:27], v[4:5]
	s_waitcnt vmcnt(1)
	v_and_b32_e32 v4, v8, v26
	s_waitcnt vmcnt(0)
	v_mad_u64_u32 v[4:5], s[20:21], v4, 24, v[24:25]
	v_and_b32_e32 v9, v9, v27
	v_mov_b32_e32 v8, v5
	v_mad_u64_u32 v[8:9], s[20:21], v9, 24, v[8:9]
	v_mov_b32_e32 v5, v8
	global_load_dwordx2 v[24:25], v[4:5], off sc0 sc1
	s_waitcnt vmcnt(0)
	global_atomic_cmpswap_x2 v[4:5], v31, v[24:27], s[24:25] offset:24 sc0 sc1
	s_waitcnt vmcnt(0)
	buffer_inv sc0 sc1
	v_cmp_eq_u64_e32 vcc, v[4:5], v[26:27]
	s_or_b64 s[18:19], vcc, s[18:19]
	s_andn2_b64 exec, exec, s[18:19]
	s_cbranch_execnz .LBB4_1657
; %bb.1658:                             ;   in Loop: Header=BB4_1599 Depth=1
	s_or_b64 exec, exec, s[18:19]
.LBB4_1659:                             ;   in Loop: Header=BB4_1599 Depth=1
	s_or_b64 exec, exec, s[16:17]
.LBB4_1660:                             ;   in Loop: Header=BB4_1599 Depth=1
	s_or_b64 exec, exec, s[14:15]
	global_load_dwordx2 v[8:9], v31, s[24:25] offset:40
	global_load_dwordx4 v[24:27], v31, s[24:25]
	v_readfirstlane_b32 s14, v4
	v_readfirstlane_b32 s15, v5
	s_mov_b64 s[16:17], exec
	s_waitcnt vmcnt(1)
	v_readfirstlane_b32 s18, v8
	v_readfirstlane_b32 s19, v9
	s_and_b64 s[18:19], s[14:15], s[18:19]
	s_mul_i32 s7, s19, 24
	s_mul_hi_u32 s20, s18, 24
	s_add_i32 s21, s20, s7
	s_mul_i32 s20, s18, 24
	s_waitcnt vmcnt(0)
	v_lshl_add_u64 v[32:33], v[24:25], 0, s[20:21]
	s_and_saveexec_b64 s[20:21], s[0:1]
	s_cbranch_execz .LBB4_1662
; %bb.1661:                             ;   in Loop: Header=BB4_1599 Depth=1
	v_mov_b64_e32 v[4:5], s[16:17]
	global_store_dwordx4 v[32:33], v[4:7], off offset:8
.LBB4_1662:                             ;   in Loop: Header=BB4_1599 Depth=1
	s_or_b64 exec, exec, s[20:21]
	s_nop 0
	v_or_b32_e32 v5, v2, v28
	v_cmp_gt_u64_e64 vcc, s[10:11], 56
	s_lshl_b32 s7, s12, 2
	s_lshl_b64 s[16:17], s[18:19], 12
	v_cndmask_b32_e32 v2, v5, v2, vcc
	s_add_i32 s7, s7, 28
	v_lshl_add_u64 v[26:27], v[26:27], 0, s[16:17]
	v_or_b32_e32 v4, 0, v3
	s_and_b32 s7, s7, 0x1e0
	v_and_b32_e32 v2, 0xffffff1f, v2
	v_cndmask_b32_e32 v9, v4, v3, vcc
	v_or_b32_e32 v8, s7, v2
	v_readfirstlane_b32 s16, v26
	v_readfirstlane_b32 s17, v27
	s_nop 4
	global_store_dwordx4 v38, v[8:11], s[16:17]
	global_store_dwordx4 v38, v[12:15], s[16:17] offset:16
	global_store_dwordx4 v38, v[16:19], s[16:17] offset:32
	global_store_dwordx4 v38, v[20:23], s[16:17] offset:48
	s_and_saveexec_b64 s[16:17], s[0:1]
	s_cbranch_execz .LBB4_1670
; %bb.1663:                             ;   in Loop: Header=BB4_1599 Depth=1
	global_load_dwordx2 v[12:13], v31, s[24:25] offset:32 sc0 sc1
	global_load_dwordx2 v[2:3], v31, s[24:25] offset:40
	v_mov_b32_e32 v10, s14
	v_mov_b32_e32 v11, s15
	s_waitcnt vmcnt(0)
	v_readfirstlane_b32 s18, v2
	v_readfirstlane_b32 s19, v3
	s_and_b64 s[18:19], s[18:19], s[14:15]
	s_mul_i32 s7, s19, 24
	s_mul_hi_u32 s19, s18, 24
	s_mul_i32 s18, s18, 24
	s_add_i32 s19, s19, s7
	v_lshl_add_u64 v[8:9], v[24:25], 0, s[18:19]
	global_store_dwordx2 v[8:9], v[12:13], off
	buffer_wbl2 sc0 sc1
	s_waitcnt vmcnt(0)
	global_atomic_cmpswap_x2 v[4:5], v31, v[10:13], s[24:25] offset:32 sc0 sc1
	s_waitcnt vmcnt(0)
	v_cmp_ne_u64_e32 vcc, v[4:5], v[12:13]
	s_and_saveexec_b64 s[18:19], vcc
	s_cbranch_execz .LBB4_1666
; %bb.1664:                             ;   in Loop: Header=BB4_1599 Depth=1
	s_mov_b64 s[20:21], 0
.LBB4_1665:                             ;   Parent Loop BB4_1599 Depth=1
                                        ; =>  This Inner Loop Header: Depth=2
	s_sleep 1
	global_store_dwordx2 v[8:9], v[4:5], off
	v_mov_b32_e32 v2, s14
	v_mov_b32_e32 v3, s15
	buffer_wbl2 sc0 sc1
	s_waitcnt vmcnt(0)
	global_atomic_cmpswap_x2 v[2:3], v31, v[2:5], s[24:25] offset:32 sc0 sc1
	s_waitcnt vmcnt(0)
	v_cmp_eq_u64_e32 vcc, v[2:3], v[4:5]
	s_or_b64 s[20:21], vcc, s[20:21]
	v_mov_b64_e32 v[4:5], v[2:3]
	s_andn2_b64 exec, exec, s[20:21]
	s_cbranch_execnz .LBB4_1665
.LBB4_1666:                             ;   in Loop: Header=BB4_1599 Depth=1
	s_or_b64 exec, exec, s[18:19]
	global_load_dwordx2 v[2:3], v31, s[24:25] offset:16
	s_mov_b64 s[20:21], exec
	v_mbcnt_lo_u32_b32 v4, s20, 0
	v_mbcnt_hi_u32_b32 v4, s21, v4
	v_cmp_eq_u32_e32 vcc, 0, v4
	s_and_saveexec_b64 s[18:19], vcc
	s_cbranch_execz .LBB4_1668
; %bb.1667:                             ;   in Loop: Header=BB4_1599 Depth=1
	s_bcnt1_i32_b64 s7, s[20:21]
	v_mov_b32_e32 v30, s7
	buffer_wbl2 sc0 sc1
	s_waitcnt vmcnt(0)
	global_atomic_add_x2 v[2:3], v[30:31], off offset:8 sc1
.LBB4_1668:                             ;   in Loop: Header=BB4_1599 Depth=1
	s_or_b64 exec, exec, s[18:19]
	s_waitcnt vmcnt(0)
	global_load_dwordx2 v[4:5], v[2:3], off offset:16
	s_waitcnt vmcnt(0)
	v_cmp_eq_u64_e32 vcc, 0, v[4:5]
	s_cbranch_vccnz .LBB4_1670
; %bb.1669:                             ;   in Loop: Header=BB4_1599 Depth=1
	global_load_dword v30, v[2:3], off offset:24
	s_waitcnt vmcnt(0)
	v_and_b32_e32 v2, 0xffffff, v30
	s_nop 0
	v_readfirstlane_b32 m0, v2
	buffer_wbl2 sc0 sc1
	global_store_dwordx2 v[4:5], v[30:31], off sc0 sc1
	s_sendmsg sendmsg(MSG_INTERRUPT)
.LBB4_1670:                             ;   in Loop: Header=BB4_1599 Depth=1
	s_or_b64 exec, exec, s[16:17]
	v_mov_b32_e32 v39, v31
	v_lshl_add_u64 v[2:3], v[26:27], 0, v[38:39]
	s_branch .LBB4_1674
.LBB4_1671:                             ;   in Loop: Header=BB4_1674 Depth=2
	s_or_b64 exec, exec, s[16:17]
	v_readfirstlane_b32 s7, v4
	s_cmp_eq_u32 s7, 0
	s_cbranch_scc1 .LBB4_1673
; %bb.1672:                             ;   in Loop: Header=BB4_1674 Depth=2
	s_sleep 1
	s_cbranch_execnz .LBB4_1674
	s_branch .LBB4_1676
.LBB4_1673:                             ;   in Loop: Header=BB4_1599 Depth=1
	s_branch .LBB4_1676
.LBB4_1674:                             ;   Parent Loop BB4_1599 Depth=1
                                        ; =>  This Inner Loop Header: Depth=2
	v_mov_b32_e32 v4, 1
	s_and_saveexec_b64 s[16:17], s[0:1]
	s_cbranch_execz .LBB4_1671
; %bb.1675:                             ;   in Loop: Header=BB4_1674 Depth=2
	global_load_dword v4, v[32:33], off offset:20 sc0 sc1
	s_waitcnt vmcnt(0)
	buffer_inv sc0 sc1
	v_and_b32_e32 v4, 1, v4
	s_branch .LBB4_1671
.LBB4_1676:                             ;   in Loop: Header=BB4_1599 Depth=1
	global_load_dwordx4 v[2:5], v[2:3], off
	s_and_saveexec_b64 s[16:17], s[0:1]
	s_cbranch_execz .LBB4_1598
; %bb.1677:                             ;   in Loop: Header=BB4_1599 Depth=1
	global_load_dwordx2 v[4:5], v31, s[24:25] offset:40
	global_load_dwordx2 v[12:13], v31, s[24:25] offset:24 sc0 sc1
	global_load_dwordx2 v[14:15], v31, s[24:25]
	s_waitcnt vmcnt(2)
	v_lshl_add_u64 v[8:9], v[4:5], 0, 1
	v_lshl_add_u64 v[16:17], v[8:9], 0, s[14:15]
	v_cmp_eq_u64_e32 vcc, 0, v[16:17]
	s_waitcnt vmcnt(1)
	v_mov_b32_e32 v10, v12
	v_cndmask_b32_e32 v9, v17, v9, vcc
	v_cndmask_b32_e32 v8, v16, v8, vcc
	v_and_b32_e32 v5, v9, v5
	v_and_b32_e32 v4, v8, v4
	v_mul_lo_u32 v5, v5, 24
	v_mul_hi_u32 v11, v4, 24
	v_mul_lo_u32 v4, v4, 24
	v_add_u32_e32 v5, v11, v5
	s_waitcnt vmcnt(0)
	v_lshl_add_u64 v[4:5], v[14:15], 0, v[4:5]
	global_store_dwordx2 v[4:5], v[12:13], off
	v_mov_b32_e32 v11, v13
	buffer_wbl2 sc0 sc1
	s_waitcnt vmcnt(0)
	global_atomic_cmpswap_x2 v[10:11], v31, v[8:11], s[24:25] offset:24 sc0 sc1
	s_waitcnt vmcnt(0)
	v_cmp_ne_u64_e32 vcc, v[10:11], v[12:13]
	s_and_b64 exec, exec, vcc
	s_cbranch_execz .LBB4_1598
; %bb.1678:                             ;   in Loop: Header=BB4_1599 Depth=1
	s_mov_b64 s[0:1], 0
.LBB4_1679:                             ;   Parent Loop BB4_1599 Depth=1
                                        ; =>  This Inner Loop Header: Depth=2
	s_sleep 1
	global_store_dwordx2 v[4:5], v[10:11], off
	buffer_wbl2 sc0 sc1
	s_waitcnt vmcnt(0)
	global_atomic_cmpswap_x2 v[12:13], v31, v[8:11], s[24:25] offset:24 sc0 sc1
	s_waitcnt vmcnt(0)
	v_cmp_eq_u64_e32 vcc, v[12:13], v[10:11]
	s_or_b64 s[0:1], vcc, s[0:1]
	v_mov_b64_e32 v[10:11], v[12:13]
	s_andn2_b64 exec, exec, s[0:1]
	s_cbranch_execnz .LBB4_1679
	s_branch .LBB4_1598
.LBB4_1680:
	s_branch .LBB4_1708
.LBB4_1681:
                                        ; implicit-def: $vgpr2_vgpr3
	s_cbranch_execz .LBB4_1708
; %bb.1682:
	v_readfirstlane_b32 s0, v37
	s_waitcnt vmcnt(0)
	v_mov_b64_e32 v[2:3], 0
	v_cmp_eq_u32_e64 s[0:1], s0, v37
	s_and_saveexec_b64 s[8:9], s[0:1]
	s_cbranch_execz .LBB4_1688
; %bb.1683:
	v_mov_b32_e32 v4, 0
	global_load_dwordx2 v[8:9], v4, s[24:25] offset:24 sc0 sc1
	s_waitcnt vmcnt(0)
	buffer_inv sc0 sc1
	global_load_dwordx2 v[2:3], v4, s[24:25] offset:40
	global_load_dwordx2 v[6:7], v4, s[24:25]
	s_waitcnt vmcnt(1)
	v_and_b32_e32 v2, v2, v8
	v_and_b32_e32 v3, v3, v9
	v_mul_lo_u32 v3, v3, 24
	v_mul_hi_u32 v5, v2, 24
	v_add_u32_e32 v3, v5, v3
	v_mul_lo_u32 v2, v2, 24
	s_waitcnt vmcnt(0)
	v_lshl_add_u64 v[2:3], v[6:7], 0, v[2:3]
	global_load_dwordx2 v[6:7], v[2:3], off sc0 sc1
	s_waitcnt vmcnt(0)
	global_atomic_cmpswap_x2 v[2:3], v4, v[6:9], s[24:25] offset:24 sc0 sc1
	s_waitcnt vmcnt(0)
	buffer_inv sc0 sc1
	v_cmp_ne_u64_e32 vcc, v[2:3], v[8:9]
	s_and_saveexec_b64 s[10:11], vcc
	s_cbranch_execz .LBB4_1687
; %bb.1684:
	s_mov_b64 s[12:13], 0
.LBB4_1685:                             ; =>This Inner Loop Header: Depth=1
	s_sleep 1
	global_load_dwordx2 v[6:7], v4, s[24:25] offset:40
	global_load_dwordx2 v[10:11], v4, s[24:25]
	v_mov_b64_e32 v[8:9], v[2:3]
	s_waitcnt vmcnt(1)
	v_and_b32_e32 v2, v6, v8
	s_waitcnt vmcnt(0)
	v_mad_u64_u32 v[2:3], s[14:15], v2, 24, v[10:11]
	v_and_b32_e32 v5, v7, v9
	v_mov_b32_e32 v6, v3
	v_mad_u64_u32 v[6:7], s[14:15], v5, 24, v[6:7]
	v_mov_b32_e32 v3, v6
	global_load_dwordx2 v[6:7], v[2:3], off sc0 sc1
	s_waitcnt vmcnt(0)
	global_atomic_cmpswap_x2 v[2:3], v4, v[6:9], s[24:25] offset:24 sc0 sc1
	s_waitcnt vmcnt(0)
	buffer_inv sc0 sc1
	v_cmp_eq_u64_e32 vcc, v[2:3], v[8:9]
	s_or_b64 s[12:13], vcc, s[12:13]
	s_andn2_b64 exec, exec, s[12:13]
	s_cbranch_execnz .LBB4_1685
; %bb.1686:
	s_or_b64 exec, exec, s[12:13]
.LBB4_1687:
	s_or_b64 exec, exec, s[10:11]
.LBB4_1688:
	s_or_b64 exec, exec, s[8:9]
	v_mov_b32_e32 v39, 0
	global_load_dwordx2 v[8:9], v39, s[24:25] offset:40
	global_load_dwordx4 v[4:7], v39, s[24:25]
	v_readfirstlane_b32 s8, v2
	v_readfirstlane_b32 s9, v3
	s_mov_b64 s[10:11], exec
	s_waitcnt vmcnt(1)
	v_readfirstlane_b32 s12, v8
	v_readfirstlane_b32 s13, v9
	s_and_b64 s[12:13], s[8:9], s[12:13]
	s_mul_i32 s7, s13, 24
	s_mul_hi_u32 s14, s12, 24
	s_add_i32 s15, s14, s7
	s_mul_i32 s14, s12, 24
	s_waitcnt vmcnt(0)
	v_lshl_add_u64 v[8:9], v[4:5], 0, s[14:15]
	s_and_saveexec_b64 s[14:15], s[0:1]
	s_cbranch_execz .LBB4_1690
; %bb.1689:
	v_mov_b64_e32 v[10:11], s[10:11]
	v_mov_b32_e32 v12, 2
	v_mov_b32_e32 v13, 1
	global_store_dwordx4 v[8:9], v[10:13], off offset:8
.LBB4_1690:
	s_or_b64 exec, exec, s[14:15]
	s_lshl_b64 s[10:11], s[12:13], 12
	v_lshl_add_u64 v[6:7], v[6:7], 0, s[10:11]
	s_movk_i32 s7, 0xff1f
	s_mov_b32 s12, 0
	v_and_or_b32 v0, v0, s7, 32
	v_mov_b32_e32 v2, v39
	v_mov_b32_e32 v3, v39
	v_readfirstlane_b32 s10, v6
	v_readfirstlane_b32 s11, v7
	s_mov_b32 s13, s12
	s_mov_b32 s14, s12
	;; [unrolled: 1-line block ×3, first 2 shown]
	s_nop 1
	global_store_dwordx4 v38, v[0:3], s[10:11]
	s_nop 1
	v_mov_b64_e32 v[0:1], s[12:13]
	v_mov_b64_e32 v[2:3], s[14:15]
	global_store_dwordx4 v38, v[0:3], s[10:11] offset:16
	global_store_dwordx4 v38, v[0:3], s[10:11] offset:32
	global_store_dwordx4 v38, v[0:3], s[10:11] offset:48
	s_and_saveexec_b64 s[10:11], s[0:1]
	s_cbranch_execz .LBB4_1698
; %bb.1691:
	v_mov_b32_e32 v10, 0
	global_load_dwordx2 v[14:15], v10, s[24:25] offset:32 sc0 sc1
	global_load_dwordx2 v[0:1], v10, s[24:25] offset:40
	v_mov_b32_e32 v12, s8
	v_mov_b32_e32 v13, s9
	s_waitcnt vmcnt(0)
	v_readfirstlane_b32 s12, v0
	v_readfirstlane_b32 s13, v1
	s_and_b64 s[12:13], s[12:13], s[8:9]
	s_mul_i32 s7, s13, 24
	s_mul_hi_u32 s13, s12, 24
	s_mul_i32 s12, s12, 24
	s_add_i32 s13, s13, s7
	v_lshl_add_u64 v[4:5], v[4:5], 0, s[12:13]
	global_store_dwordx2 v[4:5], v[14:15], off
	buffer_wbl2 sc0 sc1
	s_waitcnt vmcnt(0)
	global_atomic_cmpswap_x2 v[2:3], v10, v[12:15], s[24:25] offset:32 sc0 sc1
	s_waitcnt vmcnt(0)
	v_cmp_ne_u64_e32 vcc, v[2:3], v[14:15]
	s_and_saveexec_b64 s[12:13], vcc
	s_cbranch_execz .LBB4_1694
; %bb.1692:
	s_mov_b64 s[14:15], 0
.LBB4_1693:                             ; =>This Inner Loop Header: Depth=1
	s_sleep 1
	global_store_dwordx2 v[4:5], v[2:3], off
	v_mov_b32_e32 v0, s8
	v_mov_b32_e32 v1, s9
	buffer_wbl2 sc0 sc1
	s_waitcnt vmcnt(0)
	global_atomic_cmpswap_x2 v[0:1], v10, v[0:3], s[24:25] offset:32 sc0 sc1
	s_waitcnt vmcnt(0)
	v_cmp_eq_u64_e32 vcc, v[0:1], v[2:3]
	s_or_b64 s[14:15], vcc, s[14:15]
	v_mov_b64_e32 v[2:3], v[0:1]
	s_andn2_b64 exec, exec, s[14:15]
	s_cbranch_execnz .LBB4_1693
.LBB4_1694:
	s_or_b64 exec, exec, s[12:13]
	v_mov_b32_e32 v3, 0
	global_load_dwordx2 v[0:1], v3, s[24:25] offset:16
	s_mov_b64 s[12:13], exec
	v_mbcnt_lo_u32_b32 v2, s12, 0
	v_mbcnt_hi_u32_b32 v2, s13, v2
	v_cmp_eq_u32_e32 vcc, 0, v2
	s_and_saveexec_b64 s[14:15], vcc
	s_cbranch_execz .LBB4_1696
; %bb.1695:
	s_bcnt1_i32_b64 s7, s[12:13]
	v_mov_b32_e32 v2, s7
	buffer_wbl2 sc0 sc1
	s_waitcnt vmcnt(0)
	global_atomic_add_x2 v[0:1], v[2:3], off offset:8 sc1
.LBB4_1696:
	s_or_b64 exec, exec, s[14:15]
	s_waitcnt vmcnt(0)
	global_load_dwordx2 v[2:3], v[0:1], off offset:16
	s_waitcnt vmcnt(0)
	v_cmp_eq_u64_e32 vcc, 0, v[2:3]
	s_cbranch_vccnz .LBB4_1698
; %bb.1697:
	global_load_dword v0, v[0:1], off offset:24
	v_mov_b32_e32 v1, 0
	buffer_wbl2 sc0 sc1
	s_waitcnt vmcnt(0)
	global_store_dwordx2 v[2:3], v[0:1], off sc0 sc1
	v_and_b32_e32 v0, 0xffffff, v0
	s_nop 0
	v_readfirstlane_b32 m0, v0
	s_sendmsg sendmsg(MSG_INTERRUPT)
.LBB4_1698:
	s_or_b64 exec, exec, s[10:11]
	v_lshl_add_u64 v[0:1], v[6:7], 0, v[38:39]
	s_branch .LBB4_1702
.LBB4_1699:                             ;   in Loop: Header=BB4_1702 Depth=1
	s_or_b64 exec, exec, s[10:11]
	v_readfirstlane_b32 s7, v2
	s_cmp_eq_u32 s7, 0
	s_cbranch_scc1 .LBB4_1701
; %bb.1700:                             ;   in Loop: Header=BB4_1702 Depth=1
	s_sleep 1
	s_cbranch_execnz .LBB4_1702
	s_branch .LBB4_1704
.LBB4_1701:
	s_branch .LBB4_1704
.LBB4_1702:                             ; =>This Inner Loop Header: Depth=1
	v_mov_b32_e32 v2, 1
	s_and_saveexec_b64 s[10:11], s[0:1]
	s_cbranch_execz .LBB4_1699
; %bb.1703:                             ;   in Loop: Header=BB4_1702 Depth=1
	global_load_dword v2, v[8:9], off offset:20 sc0 sc1
	s_waitcnt vmcnt(0)
	buffer_inv sc0 sc1
	v_and_b32_e32 v2, 1, v2
	s_branch .LBB4_1699
.LBB4_1704:
	global_load_dwordx2 v[2:3], v[0:1], off
	s_and_saveexec_b64 s[10:11], s[0:1]
	s_cbranch_execz .LBB4_1707
; %bb.1705:
	v_mov_b32_e32 v8, 0
	global_load_dwordx2 v[0:1], v8, s[24:25] offset:40
	global_load_dwordx2 v[10:11], v8, s[24:25] offset:24 sc0 sc1
	global_load_dwordx2 v[12:13], v8, s[24:25]
	s_mov_b64 s[0:1], 0
	s_waitcnt vmcnt(2)
	v_lshl_add_u64 v[4:5], v[0:1], 0, 1
	v_lshl_add_u64 v[14:15], v[4:5], 0, s[8:9]
	v_cmp_eq_u64_e32 vcc, 0, v[14:15]
	s_waitcnt vmcnt(1)
	v_mov_b32_e32 v6, v10
	v_cndmask_b32_e32 v5, v15, v5, vcc
	v_cndmask_b32_e32 v4, v14, v4, vcc
	v_and_b32_e32 v1, v5, v1
	v_and_b32_e32 v0, v4, v0
	v_mul_lo_u32 v1, v1, 24
	v_mul_hi_u32 v7, v0, 24
	v_mul_lo_u32 v0, v0, 24
	v_add_u32_e32 v1, v7, v1
	s_waitcnt vmcnt(0)
	v_lshl_add_u64 v[0:1], v[12:13], 0, v[0:1]
	global_store_dwordx2 v[0:1], v[10:11], off
	v_mov_b32_e32 v7, v11
	buffer_wbl2 sc0 sc1
	s_waitcnt vmcnt(0)
	global_atomic_cmpswap_x2 v[6:7], v8, v[4:7], s[24:25] offset:24 sc0 sc1
	s_waitcnt vmcnt(0)
	v_cmp_ne_u64_e32 vcc, v[6:7], v[10:11]
	s_and_b64 exec, exec, vcc
	s_cbranch_execz .LBB4_1707
.LBB4_1706:                             ; =>This Inner Loop Header: Depth=1
	s_sleep 1
	global_store_dwordx2 v[0:1], v[6:7], off
	buffer_wbl2 sc0 sc1
	s_waitcnt vmcnt(0)
	global_atomic_cmpswap_x2 v[10:11], v8, v[4:7], s[24:25] offset:24 sc0 sc1
	s_waitcnt vmcnt(0)
	v_cmp_eq_u64_e32 vcc, v[10:11], v[6:7]
	s_or_b64 s[0:1], vcc, s[0:1]
	v_mov_b64_e32 v[6:7], v[10:11]
	s_andn2_b64 exec, exec, s[0:1]
	s_cbranch_execnz .LBB4_1706
.LBB4_1707:
	s_or_b64 exec, exec, s[10:11]
.LBB4_1708:
	v_readfirstlane_b32 s0, v37
	s_waitcnt vmcnt(0)
	v_mov_b64_e32 v[0:1], 0
	v_cmp_eq_u32_e64 s[0:1], s0, v37
	s_and_saveexec_b64 s[8:9], s[0:1]
	s_cbranch_execz .LBB4_1714
; %bb.1709:
	v_mov_b32_e32 v4, 0
	global_load_dwordx2 v[8:9], v4, s[24:25] offset:24 sc0 sc1
	s_waitcnt vmcnt(0)
	buffer_inv sc0 sc1
	global_load_dwordx2 v[0:1], v4, s[24:25] offset:40
	global_load_dwordx2 v[6:7], v4, s[24:25]
	s_waitcnt vmcnt(1)
	v_and_b32_e32 v0, v0, v8
	v_and_b32_e32 v1, v1, v9
	v_mul_lo_u32 v1, v1, 24
	v_mul_hi_u32 v5, v0, 24
	v_add_u32_e32 v1, v5, v1
	v_mul_lo_u32 v0, v0, 24
	s_waitcnt vmcnt(0)
	v_lshl_add_u64 v[0:1], v[6:7], 0, v[0:1]
	global_load_dwordx2 v[6:7], v[0:1], off sc0 sc1
	s_waitcnt vmcnt(0)
	global_atomic_cmpswap_x2 v[0:1], v4, v[6:9], s[24:25] offset:24 sc0 sc1
	s_waitcnt vmcnt(0)
	buffer_inv sc0 sc1
	v_cmp_ne_u64_e32 vcc, v[0:1], v[8:9]
	s_and_saveexec_b64 s[10:11], vcc
	s_cbranch_execz .LBB4_1713
; %bb.1710:
	s_mov_b64 s[12:13], 0
.LBB4_1711:                             ; =>This Inner Loop Header: Depth=1
	s_sleep 1
	global_load_dwordx2 v[6:7], v4, s[24:25] offset:40
	global_load_dwordx2 v[10:11], v4, s[24:25]
	v_mov_b64_e32 v[8:9], v[0:1]
	s_waitcnt vmcnt(1)
	v_and_b32_e32 v0, v6, v8
	s_waitcnt vmcnt(0)
	v_mad_u64_u32 v[0:1], s[14:15], v0, 24, v[10:11]
	v_and_b32_e32 v5, v7, v9
	v_mov_b32_e32 v6, v1
	v_mad_u64_u32 v[6:7], s[14:15], v5, 24, v[6:7]
	v_mov_b32_e32 v1, v6
	global_load_dwordx2 v[6:7], v[0:1], off sc0 sc1
	s_waitcnt vmcnt(0)
	global_atomic_cmpswap_x2 v[0:1], v4, v[6:9], s[24:25] offset:24 sc0 sc1
	s_waitcnt vmcnt(0)
	buffer_inv sc0 sc1
	v_cmp_eq_u64_e32 vcc, v[0:1], v[8:9]
	s_or_b64 s[12:13], vcc, s[12:13]
	s_andn2_b64 exec, exec, s[12:13]
	s_cbranch_execnz .LBB4_1711
; %bb.1712:
	s_or_b64 exec, exec, s[12:13]
.LBB4_1713:
	s_or_b64 exec, exec, s[10:11]
.LBB4_1714:
	s_or_b64 exec, exec, s[8:9]
	v_mov_b32_e32 v5, 0
	global_load_dwordx2 v[10:11], v5, s[24:25] offset:40
	global_load_dwordx4 v[6:9], v5, s[24:25]
	v_readfirstlane_b32 s8, v0
	v_readfirstlane_b32 s9, v1
	s_mov_b64 s[10:11], exec
	s_waitcnt vmcnt(1)
	v_readfirstlane_b32 s12, v10
	v_readfirstlane_b32 s13, v11
	s_and_b64 s[12:13], s[8:9], s[12:13]
	s_mul_i32 s7, s13, 24
	s_mul_hi_u32 s14, s12, 24
	s_add_i32 s15, s14, s7
	s_mul_i32 s14, s12, 24
	s_waitcnt vmcnt(0)
	v_lshl_add_u64 v[10:11], v[6:7], 0, s[14:15]
	s_and_saveexec_b64 s[14:15], s[0:1]
	s_cbranch_execz .LBB4_1716
; %bb.1715:
	v_mov_b64_e32 v[12:13], s[10:11]
	v_mov_b32_e32 v14, 2
	v_mov_b32_e32 v15, 1
	global_store_dwordx4 v[10:11], v[12:15], off offset:8
.LBB4_1716:
	s_or_b64 exec, exec, s[14:15]
	s_lshl_b64 s[10:11], s[12:13], 12
	v_lshl_add_u64 v[0:1], v[8:9], 0, s[10:11]
	s_movk_i32 s7, 0xff1d
	s_mov_b32 s12, 0
	v_and_or_b32 v2, v2, s7, 34
	v_mov_b32_e32 v4, 10
	v_readfirstlane_b32 s10, v0
	v_readfirstlane_b32 s11, v1
	s_mov_b32 s13, s12
	s_mov_b32 s14, s12
	;; [unrolled: 1-line block ×3, first 2 shown]
	s_nop 1
	global_store_dwordx4 v38, v[2:5], s[10:11]
	v_mov_b64_e32 v[0:1], s[12:13]
	s_nop 0
	v_mov_b64_e32 v[2:3], s[14:15]
	global_store_dwordx4 v38, v[0:3], s[10:11] offset:16
	global_store_dwordx4 v38, v[0:3], s[10:11] offset:32
	;; [unrolled: 1-line block ×3, first 2 shown]
	s_and_saveexec_b64 s[10:11], s[0:1]
	s_cbranch_execz .LBB4_1724
; %bb.1717:
	v_mov_b32_e32 v8, 0
	global_load_dwordx2 v[14:15], v8, s[24:25] offset:32 sc0 sc1
	global_load_dwordx2 v[0:1], v8, s[24:25] offset:40
	v_mov_b32_e32 v12, s8
	v_mov_b32_e32 v13, s9
	s_waitcnt vmcnt(0)
	v_readfirstlane_b32 s12, v0
	v_readfirstlane_b32 s13, v1
	s_and_b64 s[12:13], s[12:13], s[8:9]
	s_mul_i32 s7, s13, 24
	s_mul_hi_u32 s13, s12, 24
	s_mul_i32 s12, s12, 24
	s_add_i32 s13, s13, s7
	v_lshl_add_u64 v[4:5], v[6:7], 0, s[12:13]
	global_store_dwordx2 v[4:5], v[14:15], off
	buffer_wbl2 sc0 sc1
	s_waitcnt vmcnt(0)
	global_atomic_cmpswap_x2 v[2:3], v8, v[12:15], s[24:25] offset:32 sc0 sc1
	s_waitcnt vmcnt(0)
	v_cmp_ne_u64_e32 vcc, v[2:3], v[14:15]
	s_and_saveexec_b64 s[12:13], vcc
	s_cbranch_execz .LBB4_1720
; %bb.1718:
	s_mov_b64 s[14:15], 0
.LBB4_1719:                             ; =>This Inner Loop Header: Depth=1
	s_sleep 1
	global_store_dwordx2 v[4:5], v[2:3], off
	v_mov_b32_e32 v0, s8
	v_mov_b32_e32 v1, s9
	buffer_wbl2 sc0 sc1
	s_waitcnt vmcnt(0)
	global_atomic_cmpswap_x2 v[0:1], v8, v[0:3], s[24:25] offset:32 sc0 sc1
	s_waitcnt vmcnt(0)
	v_cmp_eq_u64_e32 vcc, v[0:1], v[2:3]
	s_or_b64 s[14:15], vcc, s[14:15]
	v_mov_b64_e32 v[2:3], v[0:1]
	s_andn2_b64 exec, exec, s[14:15]
	s_cbranch_execnz .LBB4_1719
.LBB4_1720:
	s_or_b64 exec, exec, s[12:13]
	v_mov_b32_e32 v3, 0
	global_load_dwordx2 v[0:1], v3, s[24:25] offset:16
	s_mov_b64 s[12:13], exec
	v_mbcnt_lo_u32_b32 v2, s12, 0
	v_mbcnt_hi_u32_b32 v2, s13, v2
	v_cmp_eq_u32_e32 vcc, 0, v2
	s_and_saveexec_b64 s[14:15], vcc
	s_cbranch_execz .LBB4_1722
; %bb.1721:
	s_bcnt1_i32_b64 s7, s[12:13]
	v_mov_b32_e32 v2, s7
	buffer_wbl2 sc0 sc1
	s_waitcnt vmcnt(0)
	global_atomic_add_x2 v[0:1], v[2:3], off offset:8 sc1
.LBB4_1722:
	s_or_b64 exec, exec, s[14:15]
	s_waitcnt vmcnt(0)
	global_load_dwordx2 v[2:3], v[0:1], off offset:16
	s_waitcnt vmcnt(0)
	v_cmp_eq_u64_e32 vcc, 0, v[2:3]
	s_cbranch_vccnz .LBB4_1724
; %bb.1723:
	global_load_dword v0, v[0:1], off offset:24
	v_mov_b32_e32 v1, 0
	buffer_wbl2 sc0 sc1
	s_waitcnt vmcnt(0)
	global_store_dwordx2 v[2:3], v[0:1], off sc0 sc1
	v_and_b32_e32 v0, 0xffffff, v0
	s_nop 0
	v_readfirstlane_b32 m0, v0
	s_sendmsg sendmsg(MSG_INTERRUPT)
.LBB4_1724:
	s_or_b64 exec, exec, s[10:11]
	s_branch .LBB4_1728
.LBB4_1725:                             ;   in Loop: Header=BB4_1728 Depth=1
	s_or_b64 exec, exec, s[10:11]
	v_readfirstlane_b32 s7, v0
	s_cmp_eq_u32 s7, 0
	s_cbranch_scc1 .LBB4_1727
; %bb.1726:                             ;   in Loop: Header=BB4_1728 Depth=1
	s_sleep 1
	s_cbranch_execnz .LBB4_1728
	s_branch .LBB4_1730
.LBB4_1727:
	s_branch .LBB4_1730
.LBB4_1728:                             ; =>This Inner Loop Header: Depth=1
	v_mov_b32_e32 v0, 1
	s_and_saveexec_b64 s[10:11], s[0:1]
	s_cbranch_execz .LBB4_1725
; %bb.1729:                             ;   in Loop: Header=BB4_1728 Depth=1
	global_load_dword v0, v[10:11], off offset:20 sc0 sc1
	s_waitcnt vmcnt(0)
	buffer_inv sc0 sc1
	v_and_b32_e32 v0, 1, v0
	s_branch .LBB4_1725
.LBB4_1730:
	s_and_saveexec_b64 s[10:11], s[0:1]
	s_cbranch_execz .LBB4_1733
; %bb.1731:
	v_mov_b32_e32 v6, 0
	global_load_dwordx2 v[4:5], v6, s[24:25] offset:40
	global_load_dwordx2 v[8:9], v6, s[24:25] offset:24 sc0 sc1
	global_load_dwordx2 v[10:11], v6, s[24:25]
	s_mov_b64 s[0:1], 0
	s_waitcnt vmcnt(2)
	v_lshl_add_u64 v[0:1], v[4:5], 0, 1
	v_lshl_add_u64 v[12:13], v[0:1], 0, s[8:9]
	v_cmp_eq_u64_e32 vcc, 0, v[12:13]
	s_waitcnt vmcnt(1)
	v_mov_b32_e32 v2, v8
	v_cndmask_b32_e32 v1, v13, v1, vcc
	v_cndmask_b32_e32 v0, v12, v0, vcc
	v_and_b32_e32 v3, v1, v5
	v_and_b32_e32 v4, v0, v4
	v_mul_lo_u32 v3, v3, 24
	v_mul_hi_u32 v5, v4, 24
	v_mul_lo_u32 v4, v4, 24
	v_add_u32_e32 v5, v5, v3
	s_waitcnt vmcnt(0)
	v_lshl_add_u64 v[4:5], v[10:11], 0, v[4:5]
	global_store_dwordx2 v[4:5], v[8:9], off
	v_mov_b32_e32 v3, v9
	buffer_wbl2 sc0 sc1
	s_waitcnt vmcnt(0)
	global_atomic_cmpswap_x2 v[2:3], v6, v[0:3], s[24:25] offset:24 sc0 sc1
	s_waitcnt vmcnt(0)
	v_cmp_ne_u64_e32 vcc, v[2:3], v[8:9]
	s_and_b64 exec, exec, vcc
	s_cbranch_execz .LBB4_1733
.LBB4_1732:                             ; =>This Inner Loop Header: Depth=1
	s_sleep 1
	global_store_dwordx2 v[4:5], v[2:3], off
	buffer_wbl2 sc0 sc1
	s_waitcnt vmcnt(0)
	global_atomic_cmpswap_x2 v[8:9], v6, v[0:3], s[24:25] offset:24 sc0 sc1
	s_waitcnt vmcnt(0)
	v_cmp_eq_u64_e32 vcc, v[8:9], v[2:3]
	s_or_b64 s[0:1], vcc, s[0:1]
	v_mov_b64_e32 v[2:3], v[8:9]
	s_andn2_b64 exec, exec, s[0:1]
	s_cbranch_execnz .LBB4_1732
.LBB4_1733:
	s_or_b64 exec, exec, s[10:11]
	ds_read_b64 v[0:1], v41
	s_waitcnt lgkmcnt(0)
	flat_load_dword v2, v[0:1]
	s_waitcnt vmcnt(0) lgkmcnt(0)
	v_add_u32_e32 v2, 1, v2
	flat_store_dword v[0:1], v2
.LBB4_1734:
	s_or_b64 exec, exec, s[22:23]
	s_add_u32 s8, s2, 16
	s_addc_u32 s9, s3, 0
	s_mov_b32 s12, s4
	s_mov_b32 s13, s5
	;; [unrolled: 1-line block ×3, first 2 shown]
	s_getpc_b64 s[0:1]
	s_add_u32 s0, s0, _ZN8migraphx4test4failEv@rel32@lo+4
	s_addc_u32 s1, s1, _ZN8migraphx4test4failEv@rel32@hi+12
	s_swappc_b64 s[30:31], s[0:1]
	; divergent unreachable
	s_endpgm
	.section	.rodata,"a",@progbits
	.p2align	6, 0x0
	.amdhsa_kernel gpu_test_kernel
		.amdhsa_group_segment_fixed_size 24576
		.amdhsa_private_segment_fixed_size 64
		.amdhsa_kernarg_size 272
		.amdhsa_user_sgpr_count 4
		.amdhsa_user_sgpr_dispatch_ptr 1
		.amdhsa_user_sgpr_queue_ptr 0
		.amdhsa_user_sgpr_kernarg_segment_ptr 1
		.amdhsa_user_sgpr_dispatch_id 0
		.amdhsa_user_sgpr_kernarg_preload_length 0
		.amdhsa_user_sgpr_kernarg_preload_offset 0
		.amdhsa_user_sgpr_private_segment_size 0
		.amdhsa_uses_dynamic_stack 0
		.amdhsa_enable_private_segment 1
		.amdhsa_system_sgpr_workgroup_id_x 1
		.amdhsa_system_sgpr_workgroup_id_y 1
		.amdhsa_system_sgpr_workgroup_id_z 1
		.amdhsa_system_sgpr_workgroup_info 0
		.amdhsa_system_vgpr_workitem_id 2
		.amdhsa_next_free_vgpr 50
		.amdhsa_next_free_sgpr 46
		.amdhsa_accum_offset 52
		.amdhsa_reserve_vcc 1
		.amdhsa_float_round_mode_32 0
		.amdhsa_float_round_mode_16_64 0
		.amdhsa_float_denorm_mode_32 3
		.amdhsa_float_denorm_mode_16_64 3
		.amdhsa_dx10_clamp 1
		.amdhsa_ieee_mode 1
		.amdhsa_fp16_overflow 0
		.amdhsa_tg_split 0
		.amdhsa_exception_fp_ieee_invalid_op 0
		.amdhsa_exception_fp_denorm_src 0
		.amdhsa_exception_fp_ieee_div_zero 0
		.amdhsa_exception_fp_ieee_overflow 0
		.amdhsa_exception_fp_ieee_underflow 0
		.amdhsa_exception_fp_ieee_inexact 0
		.amdhsa_exception_int_div_zero 0
	.end_amdhsa_kernel
	.text
.Lfunc_end4:
	.size	gpu_test_kernel, .Lfunc_end4-gpu_test_kernel
                                        ; -- End function
	.section	.AMDGPU.csdata,"",@progbits
; Kernel info:
; codeLenInByte = 59176
; NumSgprs: 52
; NumVgprs: 50
; NumAgprs: 0
; TotalNumVgprs: 50
; ScratchSize: 64
; MemoryBound: 0
; FloatMode: 240
; IeeeMode: 1
; LDSByteSize: 24576 bytes/workgroup (compile time only)
; SGPRBlocks: 6
; VGPRBlocks: 6
; NumSGPRsForWavesPerEU: 52
; NumVGPRsForWavesPerEU: 50
; AccumOffset: 52
; Occupancy: 8
; WaveLimiterHint : 1
; COMPUTE_PGM_RSRC2:SCRATCH_EN: 1
; COMPUTE_PGM_RSRC2:USER_SGPR: 4
; COMPUTE_PGM_RSRC2:TRAP_HANDLER: 0
; COMPUTE_PGM_RSRC2:TGID_X_EN: 1
; COMPUTE_PGM_RSRC2:TGID_Y_EN: 1
; COMPUTE_PGM_RSRC2:TGID_Z_EN: 1
; COMPUTE_PGM_RSRC2:TIDIG_COMP_CNT: 2
; COMPUTE_PGM_RSRC3_GFX90A:ACCUM_OFFSET: 12
; COMPUTE_PGM_RSRC3_GFX90A:TG_SPLIT: 0
	.text
	.p2alignl 6, 3212836864
	.fill 256, 4, 3212836864
	.type	.str,@object                    ; @.str
	.section	.rodata.str1.1,"aMS",@progbits,1
.str:
	.asciz	"not migraphx::equal(a.begin(), a.end(), b.begin(), [](int x, int y) { return x == y; })"
	.size	.str, 88

	.type	__PRETTY_FUNCTION__._ZL11equal_falseRN8migraphx4test12test_managerE,@object ; @__PRETTY_FUNCTION__._ZL11equal_falseRN8migraphx4test12test_managerE
__PRETTY_FUNCTION__._ZL11equal_falseRN8migraphx4test12test_managerE:
	.asciz	"void equal_false(migraphx::test::test_manager &)"
	.size	__PRETTY_FUNCTION__._ZL11equal_falseRN8migraphx4test12test_managerE, 49

	.type	.str.1,@object                  ; @.str.1
.str.1:
	.asciz	"/root/src/amdgpu-assembly/repos/ROCm__AMDMIGraphX/_shim/test_algorithm_14_shim.cpp"
	.size	.str.1, 83

	.type	.str.2,@object                  ; @.str.2
.str.2:
	.asciz	"    FAILED: "
	.size	.str.2, 13

	.type	.str.3,@object                  ; @.str.3
.str.3:
	.asciz	" [ "
	.size	.str.3, 4

	.type	.str.4,@object                  ; @.str.4
.str.4:
	.asciz	" ]"
	.size	.str.4, 3

	.type	.str.5,@object                  ; @.str.5
.str.5:
	.asciz	"%s"
	.size	.str.5, 3

	.type	.str.6,@object                  ; @.str.6
.str.6:
	.asciz	"%c"
	.size	.str.6, 3

	.type	.str.7,@object                  ; @.str.7
.str.7:
	.asciz	"%li"
	.size	.str.7, 4

	.type	.str.10,@object                 ; @.str.10
.str.10:
	.asciz	"true"
	.size	.str.10, 5

	.type	.str.11,@object                 ; @.str.11
.str.11:
	.asciz	"false"
	.size	.str.11, 6

	.type	.str.13,@object                 ; @.str.13
.str.13:
	.asciz	"migraphx::equal(a.begin(), a.end(), b.begin(), [](int x, int y) { return x * 2 == y; })"
	.size	.str.13, 88

	.type	__PRETTY_FUNCTION__._ZL22equal_custom_predicateRN8migraphx4test12test_managerE,@object ; @__PRETTY_FUNCTION__._ZL22equal_custom_predicateRN8migraphx4test12test_managerE
__PRETTY_FUNCTION__._ZL22equal_custom_predicateRN8migraphx4test12test_managerE:
	.asciz	"void equal_custom_predicate(migraphx::test::test_manager &)"
	.size	__PRETTY_FUNCTION__._ZL22equal_custom_predicateRN8migraphx4test12test_managerE, 60

	.type	__hip_cuid_7f7254d8517a6a57,@object ; @__hip_cuid_7f7254d8517a6a57
	.section	.bss,"aw",@nobits
	.globl	__hip_cuid_7f7254d8517a6a57
__hip_cuid_7f7254d8517a6a57:
	.byte	0                               ; 0x0
	.size	__hip_cuid_7f7254d8517a6a57, 1

	.ident	"AMD clang version 19.0.0git (https://github.com/RadeonOpenCompute/llvm-project roc-6.4.0 25133 c7fe45cf4b819c5991fe208aaa96edf142730f1d)"
	.section	".note.GNU-stack","",@progbits
	.addrsig
	.addrsig_sym __hip_cuid_7f7254d8517a6a57
	.amdgpu_metadata
---
amdhsa.kernels:
  - .agpr_count:     0
    .args:
      - .offset:         0
        .size:           4
        .value_kind:     by_value
      - .address_space:  global
        .offset:         8
        .size:           8
        .value_kind:     global_buffer
      - .offset:         16
        .size:           4
        .value_kind:     hidden_block_count_x
      - .offset:         20
        .size:           4
        .value_kind:     hidden_block_count_y
      - .offset:         24
        .size:           4
        .value_kind:     hidden_block_count_z
      - .offset:         28
        .size:           2
        .value_kind:     hidden_group_size_x
      - .offset:         30
        .size:           2
        .value_kind:     hidden_group_size_y
      - .offset:         32
        .size:           2
        .value_kind:     hidden_group_size_z
      - .offset:         34
        .size:           2
        .value_kind:     hidden_remainder_x
      - .offset:         36
        .size:           2
        .value_kind:     hidden_remainder_y
      - .offset:         38
        .size:           2
        .value_kind:     hidden_remainder_z
      - .offset:         56
        .size:           8
        .value_kind:     hidden_global_offset_x
      - .offset:         64
        .size:           8
        .value_kind:     hidden_global_offset_y
      - .offset:         72
        .size:           8
        .value_kind:     hidden_global_offset_z
      - .offset:         80
        .size:           2
        .value_kind:     hidden_grid_dims
      - .offset:         96
        .size:           8
        .value_kind:     hidden_hostcall_buffer
    .group_segment_fixed_size: 24576
    .kernarg_segment_align: 8
    .kernarg_segment_size: 272
    .language:       OpenCL C
    .language_version:
      - 2
      - 0
    .max_flat_workgroup_size: 1024
    .name:           gpu_test_kernel
    .private_segment_fixed_size: 64
    .sgpr_count:     52
    .sgpr_spill_count: 0
    .symbol:         gpu_test_kernel.kd
    .uniform_work_group_size: 1
    .uses_dynamic_stack: false
    .vgpr_count:     50
    .vgpr_spill_count: 0
    .wavefront_size: 64
amdhsa.target:   amdgcn-amd-amdhsa--gfx950
amdhsa.version:
  - 1
  - 2
...

	.end_amdgpu_metadata
